;; amdgpu-corpus repo=ROCm/aiter kind=harvested arch=n/a opt=n/a

/root/src/amdgpu-assembly/repos/ROCm__aiter/hsa/gfx950/f4gemm/f4gemm_bf16_per1x32Fp4_BpreShuffle_32x768.co:	file format elf64-amdgpu

Disassembly of section .text:

0000000000002c00 <_ZN5aiter41f4gemm_bf16_per1x32Fp4_BpreShuffle_32x768E>:
	s_and_b32 s1, s1, 0xffff                                   // 000000002C00: 8601FF01 0000FFFF
	s_load_dwordx2 s[4:5], s[0:1], 0x0                         // 000000002C08: C0060100 00000000
	s_load_dwordx2 s[8:9], s[0:1], 0x10                        // 000000002C10: C0060200 00000010
	s_load_dwordx2 s[12:13], s[0:1], 0x20                      // 000000002C18: C0060300 00000020
	s_load_dwordx2 s[16:17], s[0:1], 0x30                      // 000000002C20: C0060400 00000030
	s_load_dword s41, s[0:1], 0x40                             // 000000002C28: C0020A40 00000040
	s_load_dword s42, s[0:1], 0x50                             // 000000002C30: C0020A80 00000050
	s_load_dword s36, s[0:1], 0x80                             // 000000002C38: C0020900 00000080
	s_load_dword s37, s[0:1], 0xa0                             // 000000002C40: C0020940 000000A0
	s_load_dword s38, s[0:1], 0xc0                             // 000000002C48: C0020980 000000C0
	s_load_dword s43, s[0:1], 0xe0                             // 000000002C50: C0020AC0 000000E0
	s_load_dword s44, s[0:1], 0xf0                             // 000000002C58: C0020B00 000000F0
	s_load_dword s45, s[0:1], 0x100                            // 000000002C60: C0020B40 00000100
	s_load_dwordx2 s[20:21], s[0:1], 0x110                     // 000000002C68: C0060500 00000110
	s_load_dwordx2 s[24:25], s[0:1], 0x120                     // 000000002C70: C0060600 00000120
	s_load_dword s39, s[0:1], 0x130                            // 000000002C78: C00209C0 00000130
	s_load_dword s40, s[0:1], 0x150                            // 000000002C80: C0020A00 00000150
	v_lshrrev_b32_e32 v1, 10, v0                               // 000000002C88: 2002008A
	v_lshrrev_b32_e32 v2, 10, v1                               // 000000002C8C: 2004028A
	v_and_b32_e32 v2, 0x3ff, v2                                // 000000002C90: 260404FF 000003FF
	v_and_b32_e32 v1, 0x3ff, v1                                // 000000002C98: 260202FF 000003FF
	v_and_b32_e32 v0, 0x3ff, v0                                // 000000002CA0: 260000FF 000003FF
	v_lshrrev_b32_e32 v3, 6, v0                                // 000000002CA8: 20060086
	v_and_b32_e32 v0, 63, v0                                   // 000000002CAC: 260000BF
	s_mov_b32 s47, s2                                          // 000000002CB0: BEAF0002
	s_mov_b32 s48, s3                                          // 000000002CB4: BEB00003
	v_readfirstlane_b32 s46, v3                                // 000000002CB8: 7E5C0503
	s_waitcnt lgkmcnt(0)                                       // 000000002CBC: BF8CC07F
	s_add_u32 s51, s44, 0x2ff                                  // 000000002CC0: 8033FF2C 000002FF
	s_mov_b32 s63, 0x300                                       // 000000002CC8: BEBF00FF 00000300
	v_cvt_f32_u32_e32 v4, s63                                  // 000000002CD0: 7E080C3F
	s_sub_i32 s50, 0, s63                                      // 000000002CD4: 81B23F80
	v_rcp_iflag_f32_e32 v4, v4                                 // 000000002CD8: 7E084704
	s_nop 0                                                    // 000000002CDC: BF800000
	v_mul_f32_e32 v4, 0x4f7ffffe, v4                           // 000000002CE0: 0A0808FF 4F7FFFFE
	v_cvt_u32_f32_e32 v4, v4                                   // 000000002CE8: 7E080F04
	v_mul_lo_u32 v5, s50, v4                                   // 000000002CEC: D2850005 00020832
	v_mul_hi_u32 v5, v4, v5                                    // 000000002CF4: D2860005 00020B04
	v_add_u32_e32 v4, v4, v5                                   // 000000002CFC: 68080B04
	v_mul_hi_u32 v4, s51, v4                                   // 000000002D00: D2860004 00020833
	v_mul_lo_u32 v5, v4, s63                                   // 000000002D08: D2850005 00007F04
	v_sub_u32_e32 v7, s51, v5                                  // 000000002D10: 6A0E0A33
	v_add_u32_e32 v6, 1, v4                                    // 000000002D14: 680C0881
	v_cmp_le_u32_e32 vcc, s63, v7                              // 000000002D18: 7D960E3F
	v_subrev_u32_e32 v5, s63, v7                               // 000000002D1C: 6C0A0E3F
	s_nop 0                                                    // 000000002D20: BF800000
	v_cndmask_b32_e32 v4, v4, v6, vcc                          // 000000002D24: 00080D04
	v_cndmask_b32_e32 v7, v7, v5, vcc                          // 000000002D28: 000E0B07
	v_add_u32_e32 v5, 1, v4                                    // 000000002D2C: 680A0881
	v_cmp_le_u32_e32 vcc, s63, v7                              // 000000002D30: 7D960E3F
	s_nop 1                                                    // 000000002D34: BF800001
	v_cndmask_b32_e32 v7, v4, v5, vcc                          // 000000002D38: 000E0B04
	s_nop 3                                                    // 000000002D3C: BF800003
	v_readfirstlane_b32 s50, v7                                // 000000002D40: 7E640507
	s_nop 3                                                    // 000000002D44: BF800003
	s_mul_i32 s49, s50, s48                                    // 000000002D48: 92313032
	s_add_i32 s49, s49, s47                                    // 000000002D4C: 81312F31
	s_add_u32 s51, s43, 31                                     // 000000002D50: 80339F2B
	s_lshr_b32 s62, s51, 5                                     // 000000002D54: 8F3E8533
	s_lshl_b32 s62, s62, 5                                     // 000000002D58: 8E3E853E
	s_mov_b32 s47, 0                                           // 000000002D5C: BEAF0080

0000000000002d60 <label_0058>:
	s_cmp_lt_i32 s49, s62                                      // 000000002D60: BF043E31
	s_cbranch_scc1 label_005D                                  // 000000002D64: BF850003
	s_sub_i32 s49, s49, s62                                    // 000000002D68: 81B13E31
	s_add_i32 s47, s47, 32                                     // 000000002D6C: 812FA02F
	s_branch label_0058                                        // 000000002D70: BF82FFFB

0000000000002d74 <label_005D>:
	s_sub_i32 s50, s50, s47                                    // 000000002D74: 81B22F32
	s_cmp_lt_i32 s50, 32                                       // 000000002D78: BF04A032
	s_cbranch_scc1 label_0063                                  // 000000002D7C: BF850003
	s_lshr_b32 s48, s49, 5                                     // 000000002D80: 8F308531
	s_and_b32 s62, s49, 31                                     // 000000002D84: 863E9F31
	s_branch label_0083                                        // 000000002D88: BF820020

0000000000002d8c <label_0063>:
	v_cvt_f32_u32_e32 v4, s50                                  // 000000002D8C: 7E080C32
	s_sub_i32 s48, 0, s50                                      // 000000002D90: 81B03280
	v_rcp_iflag_f32_e32 v4, v4                                 // 000000002D94: 7E084704
	s_nop 0                                                    // 000000002D98: BF800000
	v_mul_f32_e32 v4, 0x4f7ffffe, v4                           // 000000002D9C: 0A0808FF 4F7FFFFE
	v_cvt_u32_f32_e32 v4, v4                                   // 000000002DA4: 7E080F04
	v_mul_lo_u32 v5, s48, v4                                   // 000000002DA8: D2850005 00020830
	v_mul_hi_u32 v5, v4, v5                                    // 000000002DB0: D2860005 00020B04
	v_add_u32_e32 v4, v4, v5                                   // 000000002DB8: 68080B04
	v_mul_hi_u32 v4, s49, v4                                   // 000000002DBC: D2860004 00020831
	v_mul_lo_u32 v5, v4, s50                                   // 000000002DC4: D2850005 00006504
	v_sub_u32_e32 v7, s49, v5                                  // 000000002DCC: 6A0E0A31
	v_add_u32_e32 v6, 1, v4                                    // 000000002DD0: 680C0881
	v_cmp_le_u32_e32 vcc, s50, v7                              // 000000002DD4: 7D960E32
	v_subrev_u32_e32 v5, s50, v7                               // 000000002DD8: 6C0A0E32
	s_nop 0                                                    // 000000002DDC: BF800000
	v_cndmask_b32_e32 v4, v4, v6, vcc                          // 000000002DE0: 00080D04
	v_cndmask_b32_e32 v7, v7, v5, vcc                          // 000000002DE4: 000E0B07
	v_add_u32_e32 v5, 1, v4                                    // 000000002DE8: 680A0881
	v_cmp_le_u32_e32 vcc, s50, v7                              // 000000002DEC: 7D960E32
	s_nop 1                                                    // 000000002DF0: BF800001
	v_cndmask_b32_e32 v7, v4, v5, vcc                          // 000000002DF4: 000E0B04
	s_nop 3                                                    // 000000002DF8: BF800003
	v_readfirstlane_b32 s48, v7                                // 000000002DFC: 7E600507
	s_nop 3                                                    // 000000002E00: BF800003
	s_mul_i32 s62, s50, s48                                    // 000000002E04: 923E3032
	s_sub_i32 s62, s49, s62                                    // 000000002E08: 81BE3E31

0000000000002e0c <label_0083>:
	s_add_i32 s47, s62, s47                                    // 000000002E0C: 812F2F3E
	s_lshr_b32 s37, s37, 1                                     // 000000002E10: 8F258125
	s_mul_i32 s62, s48, 32                                     // 000000002E14: 923EA030
	s_mul_hi_u32 s63, s37, s62                                 // 000000002E18: 963F3E25
	s_add_u32 s13, s13, s63                                    // 000000002E1C: 800D3F0D
	s_mul_i32 s63, s37, s62                                    // 000000002E20: 923F3E25
	s_add_u32 s12, s12, s63                                    // 000000002E24: 800C3F0C
	s_addc_u32 s13, s13, 0                                     // 000000002E28: 820D800D
	s_sub_i32 s63, s43, s62                                    // 000000002E2C: 81BF3E2B
	s_cmp_lt_u32 s63, 32                                       // 000000002E30: BF0AA03F
	s_cselect_b32 s62, s63, 32                                 // 000000002E34: 853EA03F
	s_mul_i32 s14, s37, s62                                    // 000000002E38: 920E3E25
	s_mov_b32 s15, 0x20000                                     // 000000002E3C: BE8F00FF 00020000
	v_lshrrev_b32_e32 v4, 3, v0                                // 000000002E44: 20080083
	v_lshrrev_b32_e32 v5, 2, v4                                // 000000002E48: 200A0882
	v_lshlrev_b32_e32 v5, 4, v5                                // 000000002E4C: 240A0A84
	v_and_b32_e32 v4, 3, v4                                    // 000000002E50: 26080883
	v_lshrrev_b32_e32 v6, 1, v4                                // 000000002E54: 200C0881
	v_lshlrev_b32_e32 v6, 2, v6                                // 000000002E58: 240C0C82
	v_add_u32_e32 v5, v5, v6                                   // 000000002E5C: 680A0D05
	v_and_b32_e32 v4, 1, v4                                    // 000000002E60: 26080881
	v_add_u32_e32 v5, v5, v4                                   // 000000002E64: 680A0905
	v_mul_lo_u32 v178, s37, v5                                 // 000000002E68: D28500B2 00020A25
	v_and_b32_e32 v4, 7, v0                                    // 000000002E70: 26080087
	v_lshlrev_b32_e32 v4, 4, v4                                // 000000002E74: 24080884
	v_add_u32_e32 v178, v4, v178                               // 000000002E78: 69656504
	s_lshr_b32 s62, s46, 1                                     // 000000002E7C: 8F3E812E
	s_mul_i32 s62, s62, 8                                      // 000000002E80: 923E883E
	s_and_b32 s63, s46, 1                                      // 000000002E84: 863F812E
	s_mul_i32 s63, s63, 2                                      // 000000002E88: 923F823F
	s_add_u32 s62, s62, s63                                    // 000000002E8C: 803E3F3E
	s_mul_i32 s62, s37, s62                                    // 000000002E90: 923E3E25
	v_add_u32_e32 v178, s62, v178                              // 000000002E94: 6965643E
	s_mul_i32 s64, 0x420, s46                                  // 000000002E98: 92402EFF 00000420
	s_add_u32 s64, 0x1000, s64                                 // 000000002EA0: 804040FF 00001000
	v_and_b32_e32 v4, 15, v0                                   // 000000002EA8: 2608008F
	v_lshrrev_b32_e32 v5, 3, v4                                // 000000002EAC: 200A0883
	v_mul_i32_i24_e32 v5, 2, v5                                // 000000002EB0: 0C0A0A82
	v_and_b32_e32 v4, 3, v0                                    // 000000002EB4: 26080083
	v_lshrrev_b32_e32 v6, 1, v4                                // 000000002EB8: 200C0881
	v_add_u32_e32 v4, v5, v6                                   // 000000002EBC: 68080D05
	v_mul_i32_i24_e32 v179, 0x420, v4                          // 000000002EC0: 0D6608FF 00000420
	v_and_b32_e32 v4, 7, v0                                    // 000000002EC8: 26080087
	v_lshrrev_b32_e32 v5, 2, v4                                // 000000002ECC: 200A0882
	v_mul_i32_i24_e32 v5, 0x100, v5                            // 000000002ED0: 0C0A0AFF 00000100
	v_add_u32_e32 v179, v5, v179                               // 000000002ED8: 69676705
	v_and_b32_e32 v4, 1, v0                                    // 000000002EDC: 26080081
	v_mul_i32_i24_e32 v6, 0x80, v4                             // 000000002EE0: 0C0C08FF 00000080
	v_add_u32_e32 v179, v6, v179                               // 000000002EE8: 69676706
	v_lshrrev_b32_e32 v4, 4, v0                                // 000000002EEC: 20080084
	v_mul_i32_i24_e32 v4, 16, v4                               // 000000002EF0: 0C080890
	v_add_u32_e32 v179, v4, v179                               // 000000002EF4: 69676704
	v_add_u32_e32 v179, 0x1000, v179                           // 000000002EF8: 696766FF 00001000
	v_add_u32_e32 v180, 0x1080, v179                           // 000000002F00: 696966FF 00001080
	v_add_u32_e32 v181, 0x1080, v180                           // 000000002F08: 696B68FF 00001080
	v_add_u32_e32 v182, 0x1080, v181                           // 000000002F10: 696D6AFF 00001080
	s_mul_i32 s62, s48, 32                                     // 000000002F18: 923EA030
	s_mul_hi_u32 s63, s39, s62                                 // 000000002F1C: 963F3E27
	s_add_u32 s21, s21, s63                                    // 000000002F20: 80153F15
	s_mul_i32 s63, s39, s62                                    // 000000002F24: 923F3E27
	s_add_u32 s20, s20, s63                                    // 000000002F28: 80143F14
	s_addc_u32 s21, s21, 0                                     // 000000002F2C: 82158015
	s_add_u32 s63, s43, 31                                     // 000000002F30: 803F9F2B
	s_lshr_b32 s63, s63, 5                                     // 000000002F34: 8F3F853F
	s_lshl_b32 s63, s63, 5                                     // 000000002F38: 8E3F853F
	s_sub_i32 s63, s63, s62                                    // 000000002F3C: 81BF3E3F
	s_cmp_lt_u32 s63, 32                                       // 000000002F40: BF0AA03F
	s_cselect_b32 s62, s63, 32                                 // 000000002F44: 853EA03F
	s_mul_i32 s22, s39, s62                                    // 000000002F48: 92163E27
	s_mov_b32 s23, 0x20000                                     // 000000002F4C: BE9700FF 00020000
	v_lshlrev_b32_e32 v183, 2, v0                              // 000000002F54: 256E0082
	s_mul_i32 s63, s46, 32                                     // 000000002F58: 923FA02E
	s_mul_i32 s63, s63, s39                                    // 000000002F5C: 923F273F
	v_add_u32_e32 v183, s63, v183                              // 000000002F60: 696F6E3F
	s_mul_i32 s65, s46, 0x100                                  // 000000002F64: 9241FF2E 00000100
	s_add_i32 s65, s65, 0                                      // 000000002F6C: 81418041
	v_lshlrev_b32_e32 v184, 2, v0                              // 000000002F70: 25700082
	v_add_u32_e32 v184, 0, v184                                // 000000002F74: 69717080
	s_lshr_b32 s38, s38, 1                                     // 000000002F78: 8F268126
	s_mul_i32 s62, s47, 0x300                                  // 000000002F7C: 923EFF2F 00000300
	s_mul_hi_u32 s63, s38, s62                                 // 000000002F84: 963F3E26
	s_add_u32 s17, s17, s63                                    // 000000002F88: 80113F11
	s_mul_i32 s63, s38, s62                                    // 000000002F8C: 923F3E26
	s_add_u32 s16, s16, s63                                    // 000000002F90: 80103F10
	s_addc_u32 s17, s17, 0                                     // 000000002F94: 82118011
	s_sub_i32 s63, s44, s62                                    // 000000002F98: 81BF3E2C
	s_cmp_lt_u32 s63, 0x300                                    // 000000002F9C: BF0AFF3F 00000300
	s_cselect_b32 s62, s63, 0x300                              // 000000002FA4: 853EFF3F 00000300
	s_mul_i32 s18, s38, s62                                    // 000000002FAC: 92123E26
	s_mov_b32 s19, 0x20000                                     // 000000002FB0: BE9300FF 00020000
	v_lshlrev_b32_e32 v185, 4, v0                              // 000000002FB8: 25720084
	s_mul_i32 s63, s46, 0xc0                                   // 000000002FBC: 923FFF2E 000000C0
	s_mul_i32 s62, s63, s38                                    // 000000002FC4: 923E263F
	v_add_u32_e32 v185, s62, v185                              // 000000002FC8: 6973723E
	s_mul_i32 s62, 16, s38                                     // 000000002FCC: 923E2690
	v_add_u32_e32 v186, s62, v185                              // 000000002FD0: 6975723E
	v_add_u32_e32 v187, s62, v186                              // 000000002FD4: 6977743E
	v_add_u32_e32 v188, s62, v187                              // 000000002FD8: 6979763E
	v_add_u32_e32 v189, s62, v188                              // 000000002FDC: 697B783E
	v_add_u32_e32 v190, s62, v189                              // 000000002FE0: 697D7A3E
	v_add_u32_e32 v191, s62, v190                              // 000000002FE4: 697F7C3E
	v_add_u32_e32 v192, s62, v191                              // 000000002FE8: 69817E3E
	v_add_u32_e32 v193, s62, v192                              // 000000002FEC: 6983803E
	v_add_u32_e32 v194, s62, v193                              // 000000002FF0: 6985823E
	v_add_u32_e32 v195, s62, v194                              // 000000002FF4: 6987843E
	v_add_u32_e32 v196, s62, v195                              // 000000002FF8: 6989863E
	s_mul_i32 s62, s47, 0x300                                  // 000000002FFC: 923EFF2F 00000300
	s_mul_hi_u32 s63, s40, s62                                 // 000000003004: 963F3E28
	s_add_u32 s25, s25, s63                                    // 000000003008: 80193F19
	s_mul_i32 s63, s40, s62                                    // 00000000300C: 923F3E28
	s_add_u32 s24, s24, s63                                    // 000000003010: 80183F18
	s_addc_u32 s25, s25, 0                                     // 000000003014: 82198019
	s_sub_i32 s63, s44, s62                                    // 000000003018: 81BF3E2C
	s_cmp_lt_u32 s63, 0x300                                    // 00000000301C: BF0AFF3F 00000300
	s_cselect_b32 s62, s63, 0x300                              // 000000003024: 853EFF3F 00000300
	s_mul_i32 s26, s40, s62                                    // 00000000302C: 921A3E28
	s_mov_b32 s27, 0x20000                                     // 000000003030: BE9B00FF 00020000
	v_lshlrev_b32_e32 v197, 2, v0                              // 000000003038: 258A0082
	s_mul_i32 s63, s46, 0xc0                                   // 00000000303C: 923FFF2E 000000C0
	s_mul_i32 s63, s63, s40                                    // 000000003044: 923F283F
	v_add_u32_e32 v197, s63, v197                              // 000000003048: 698B8A3F
	s_mul_i32 s62, 32, s40                                     // 00000000304C: 923E28A0
	v_add_u32_e32 v198, s62, v197                              // 000000003050: 698D8A3E
	v_add_u32_e32 v199, s62, v198                              // 000000003054: 698F8C3E
	v_add_u32_e32 v200, s62, v199                              // 000000003058: 69918E3E
	v_add_u32_e32 v201, s62, v200                              // 00000000305C: 6993903E
	v_add_u32_e32 v202, s62, v201                              // 000000003060: 6995923E
	s_mov_b32 s66, 0x80                                        // 000000003064: BEC200FF 00000080
	s_mov_b32 s67, 0x800                                       // 00000000306C: BEC300FF 00000800
	s_mov_b32 s68, 0x100                                       // 000000003074: BEC400FF 00000100
	s_mov_b32 s69, 0x100                                       // 00000000307C: BEC500FF 00000100
	s_mov_b32 s60, 0                                           // 000000003084: BEBC0080
	s_mov_b32 s61, s45                                         // 000000003088: BEBD002D
	s_add_u32 m0, 0, s65                                       // 00000000308C: 807C4180
	buffer_load_dword v183, s[20:23], 0 offen lds              // 000000003090: E0511000 800500B7
	v_accvgpr_write_b32 a0, 0                                  // 000000003098: D3D94000 18000080
	v_accvgpr_write_b32 a1, 0                                  // 0000000030A0: D3D94001 18000080
	v_accvgpr_write_b32 a2, 0                                  // 0000000030A8: D3D94002 18000080
	v_accvgpr_write_b32 a3, 0                                  // 0000000030B0: D3D94003 18000080
	v_accvgpr_write_b32 a4, 0                                  // 0000000030B8: D3D94004 18000080
	v_accvgpr_write_b32 a5, 0                                  // 0000000030C0: D3D94005 18000080
	s_add_u32 m0, 0, s64                                       // 0000000030C8: 807C4080
	buffer_load_dwordx4 v178, s[12:15], 0 offen lds            // 0000000030CC: E05D1000 800300B2
	v_accvgpr_write_b32 a6, 0                                  // 0000000030D4: D3D94006 18000080
	v_accvgpr_write_b32 a7, 0                                  // 0000000030DC: D3D94007 18000080
	v_accvgpr_write_b32 a8, 0                                  // 0000000030E4: D3D94008 18000080
	v_accvgpr_write_b32 a9, 0                                  // 0000000030EC: D3D94009 18000080
	v_accvgpr_write_b32 a10, 0                                 // 0000000030F4: D3D9400A 18000080
	v_accvgpr_write_b32 a11, 0                                 // 0000000030FC: D3D9400B 18000080
	s_add_u32 s62, 0x100, s60                                  // 000000003104: 803E3CFF 00000100
	s_cmp_lt_u32 s62, s61                                      // 00000000310C: BF0A3D3E
	s_cselect_b32 s66, s66, 0                                  // 000000003110: 85428042
	s_cselect_b32 s68, s68, 0                                  // 000000003114: 85448044
	s_add_u32 s12, s12, s66                                    // 000000003118: 800C420C
	s_addc_u32 s13, 0, s13                                     // 00000000311C: 820D0D80
	s_sub_u32 s14, s14, s66                                    // 000000003120: 808E420E
	s_add_u32 s20, s20, s68                                    // 000000003124: 80144414
	s_addc_u32 s21, 0, s21                                     // 000000003128: 82151580
	s_sub_u32 s22, s22, s68                                    // 00000000312C: 80964416
	s_add_u32 m0, 0x400, s65                                   // 000000003130: 807C41FF 00000400
	buffer_load_dword v183, s[20:23], 0 offen lds              // 000000003138: E0511000 800500B7
	v_accvgpr_write_b32 a12, 0                                 // 000000003140: D3D9400C 18000080
	v_accvgpr_write_b32 a13, 0                                 // 000000003148: D3D9400D 18000080
	v_accvgpr_write_b32 a14, 0                                 // 000000003150: D3D9400E 18000080
	v_accvgpr_write_b32 a15, 0                                 // 000000003158: D3D9400F 18000080
	v_accvgpr_write_b32 a16, 0                                 // 000000003160: D3D94010 18000080
	v_accvgpr_write_b32 a17, 0                                 // 000000003168: D3D94011 18000080
	s_add_u32 m0, 0x1080, s64                                  // 000000003170: 807C40FF 00001080
	buffer_load_dwordx4 v178, s[12:15], 0 offen lds            // 000000003178: E05D1000 800300B2
	v_accvgpr_write_b32 a18, 0                                 // 000000003180: D3D94012 18000080
	v_accvgpr_write_b32 a19, 0                                 // 000000003188: D3D94013 18000080
	v_accvgpr_write_b32 a20, 0                                 // 000000003190: D3D94014 18000080
	v_accvgpr_write_b32 a21, 0                                 // 000000003198: D3D94015 18000080
	v_accvgpr_write_b32 a22, 0                                 // 0000000031A0: D3D94016 18000080
	v_accvgpr_write_b32 a23, 0                                 // 0000000031A8: D3D94017 18000080
	buffer_load_dwordx4 v[72:75], v185, s[16:19], 0 offen      // 0000000031B0: E05C1000 800448B9
	v_accvgpr_write_b32 a24, 0                                 // 0000000031B8: D3D94018 18000080
	v_accvgpr_write_b32 a25, 0                                 // 0000000031C0: D3D94019 18000080
	v_accvgpr_write_b32 a26, 0                                 // 0000000031C8: D3D9401A 18000080
	v_accvgpr_write_b32 a27, 0                                 // 0000000031D0: D3D9401B 18000080
	v_accvgpr_write_b32 a28, 0                                 // 0000000031D8: D3D9401C 18000080
	v_accvgpr_write_b32 a29, 0                                 // 0000000031E0: D3D9401D 18000080
	buffer_load_dwordx4 v[76:79], v186, s[16:19], 0 offen      // 0000000031E8: E05C1000 80044CBA
	v_accvgpr_write_b32 a30, 0                                 // 0000000031F0: D3D9401E 18000080
	v_accvgpr_write_b32 a31, 0                                 // 0000000031F8: D3D9401F 18000080
	v_accvgpr_write_b32 a32, 0                                 // 000000003200: D3D94020 18000080
	v_accvgpr_write_b32 a33, 0                                 // 000000003208: D3D94021 18000080
	v_accvgpr_write_b32 a34, 0                                 // 000000003210: D3D94022 18000080
	v_accvgpr_write_b32 a35, 0                                 // 000000003218: D3D94023 18000080
	buffer_load_dwordx4 v[80:83], v185, s[16:19], 0 offen offset:1024// 000000003220: E05C1400 800450B9
	v_accvgpr_write_b32 a36, 0                                 // 000000003228: D3D94024 18000080
	v_accvgpr_write_b32 a37, 0                                 // 000000003230: D3D94025 18000080
	v_accvgpr_write_b32 a38, 0                                 // 000000003238: D3D94026 18000080
	v_accvgpr_write_b32 a39, 0                                 // 000000003240: D3D94027 18000080
	v_accvgpr_write_b32 a40, 0                                 // 000000003248: D3D94028 18000080
	v_accvgpr_write_b32 a41, 0                                 // 000000003250: D3D94029 18000080
	buffer_load_dwordx4 v[84:87], v186, s[16:19], 0 offen offset:1024// 000000003258: E05C1400 800454BA
	v_accvgpr_write_b32 a42, 0                                 // 000000003260: D3D9402A 18000080
	v_accvgpr_write_b32 a43, 0                                 // 000000003268: D3D9402B 18000080
	v_accvgpr_write_b32 a44, 0                                 // 000000003270: D3D9402C 18000080
	v_accvgpr_write_b32 a45, 0                                 // 000000003278: D3D9402D 18000080
	v_accvgpr_write_b32 a46, 0                                 // 000000003280: D3D9402E 18000080
	v_accvgpr_write_b32 a47, 0                                 // 000000003288: D3D9402F 18000080
	buffer_load_dword v172, v197, s[24:27], 0 offen            // 000000003290: E0501000 8006ACC5
	v_accvgpr_write_b32 a48, 0                                 // 000000003298: D3D94030 18000080
	v_accvgpr_write_b32 a49, 0                                 // 0000000032A0: D3D94031 18000080
	v_accvgpr_write_b32 a50, 0                                 // 0000000032A8: D3D94032 18000080
	v_accvgpr_write_b32 a51, 0                                 // 0000000032B0: D3D94033 18000080
	v_accvgpr_write_b32 a52, 0                                 // 0000000032B8: D3D94034 18000080
	v_accvgpr_write_b32 a53, 0                                 // 0000000032C0: D3D94035 18000080
	s_add_u32 s62, 0x200, s60                                  // 0000000032C8: 803E3CFF 00000200
	s_cmp_lt_u32 s62, s61                                      // 0000000032D0: BF0A3D3E
	s_cselect_b32 s66, s66, 0                                  // 0000000032D4: 85428042
	s_cselect_b32 s68, s68, 0                                  // 0000000032D8: 85448044
	s_add_u32 s12, s12, s66                                    // 0000000032DC: 800C420C
	s_addc_u32 s13, 0, s13                                     // 0000000032E0: 820D0D80
	s_sub_u32 s14, s14, s66                                    // 0000000032E4: 808E420E
	s_add_u32 s20, s20, s68                                    // 0000000032E8: 80144414
	s_addc_u32 s21, 0, s21                                     // 0000000032EC: 82151580
	s_sub_u32 s22, s22, s68                                    // 0000000032F0: 80964416
	buffer_load_dwordx4 v[88:91], v187, s[16:19], 0 offen      // 0000000032F4: E05C1000 800458BB
	v_accvgpr_write_b32 a54, 0                                 // 0000000032FC: D3D94036 18000080
	v_accvgpr_write_b32 a55, 0                                 // 000000003304: D3D94037 18000080
	v_accvgpr_write_b32 a56, 0                                 // 00000000330C: D3D94038 18000080
	v_accvgpr_write_b32 a57, 0                                 // 000000003314: D3D94039 18000080
	v_accvgpr_write_b32 a58, 0                                 // 00000000331C: D3D9403A 18000080
	v_accvgpr_write_b32 a59, 0                                 // 000000003324: D3D9403B 18000080
	buffer_load_dwordx4 v[92:95], v188, s[16:19], 0 offen      // 00000000332C: E05C1000 80045CBC
	v_accvgpr_write_b32 a60, 0                                 // 000000003334: D3D9403C 18000080
	v_accvgpr_write_b32 a61, 0                                 // 00000000333C: D3D9403D 18000080
	v_accvgpr_write_b32 a62, 0                                 // 000000003344: D3D9403E 18000080
	v_accvgpr_write_b32 a63, 0                                 // 00000000334C: D3D9403F 18000080
	v_accvgpr_write_b32 a64, 0                                 // 000000003354: D3D94040 18000080
	v_accvgpr_write_b32 a65, 0                                 // 00000000335C: D3D94041 18000080
	buffer_load_dwordx4 v[96:99], v187, s[16:19], 0 offen offset:1024// 000000003364: E05C1400 800460BB
	v_accvgpr_write_b32 a66, 0                                 // 00000000336C: D3D94042 18000080
	v_accvgpr_write_b32 a67, 0                                 // 000000003374: D3D94043 18000080
	v_accvgpr_write_b32 a68, 0                                 // 00000000337C: D3D94044 18000080
	v_accvgpr_write_b32 a69, 0                                 // 000000003384: D3D94045 18000080
	v_accvgpr_write_b32 a70, 0                                 // 00000000338C: D3D94046 18000080
	v_accvgpr_write_b32 a71, 0                                 // 000000003394: D3D94047 18000080
	buffer_load_dwordx4 v[100:103], v188, s[16:19], 0 offen offset:1024// 00000000339C: E05C1400 800464BC
	v_accvgpr_write_b32 a72, 0                                 // 0000000033A4: D3D94048 18000080
	v_accvgpr_write_b32 a73, 0                                 // 0000000033AC: D3D94049 18000080
	v_accvgpr_write_b32 a74, 0                                 // 0000000033B4: D3D9404A 18000080
	v_accvgpr_write_b32 a75, 0                                 // 0000000033BC: D3D9404B 18000080
	v_accvgpr_write_b32 a76, 0                                 // 0000000033C4: D3D9404C 18000080
	v_accvgpr_write_b32 a77, 0                                 // 0000000033CC: D3D9404D 18000080
	buffer_load_dword v173, v198, s[24:27], 0 offen            // 0000000033D4: E0501000 8006ADC6
	v_accvgpr_write_b32 a78, 0                                 // 0000000033DC: D3D9404E 18000080
	v_accvgpr_write_b32 a79, 0                                 // 0000000033E4: D3D9404F 18000080
	v_accvgpr_write_b32 a80, 0                                 // 0000000033EC: D3D94050 18000080
	v_accvgpr_write_b32 a81, 0                                 // 0000000033F4: D3D94051 18000080
	v_accvgpr_write_b32 a82, 0                                 // 0000000033FC: D3D94052 18000080
	v_accvgpr_write_b32 a83, 0                                 // 000000003404: D3D94053 18000080
	buffer_load_dwordx4 v[104:107], v189, s[16:19], 0 offen    // 00000000340C: E05C1000 800468BD
	v_accvgpr_write_b32 a84, 0                                 // 000000003414: D3D94054 18000080
	v_accvgpr_write_b32 a85, 0                                 // 00000000341C: D3D94055 18000080
	v_accvgpr_write_b32 a86, 0                                 // 000000003424: D3D94056 18000080
	v_accvgpr_write_b32 a87, 0                                 // 00000000342C: D3D94057 18000080
	v_accvgpr_write_b32 a88, 0                                 // 000000003434: D3D94058 18000080
	v_accvgpr_write_b32 a89, 0                                 // 00000000343C: D3D94059 18000080
	buffer_load_dwordx4 v[108:111], v190, s[16:19], 0 offen    // 000000003444: E05C1000 80046CBE
	v_accvgpr_write_b32 a90, 0                                 // 00000000344C: D3D9405A 18000080
	v_accvgpr_write_b32 a91, 0                                 // 000000003454: D3D9405B 18000080
	v_accvgpr_write_b32 a92, 0                                 // 00000000345C: D3D9405C 18000080
	v_accvgpr_write_b32 a93, 0                                 // 000000003464: D3D9405D 18000080
	v_accvgpr_write_b32 a94, 0                                 // 00000000346C: D3D9405E 18000080
	v_accvgpr_write_b32 a95, 0                                 // 000000003474: D3D9405F 18000080
	buffer_load_dwordx4 v[112:115], v189, s[16:19], 0 offen offset:1024// 00000000347C: E05C1400 800470BD
	buffer_load_dwordx4 v[116:119], v190, s[16:19], 0 offen offset:1024// 000000003484: E05C1400 800474BE
	buffer_load_dword v174, v199, s[24:27], 0 offen            // 00000000348C: E0501000 8006AEC7
	s_waitcnt vmcnt(15)                                        // 000000003494: BF8C0F7F
	s_barrier                                                  // 000000003498: BF8A0000
	ds_read_b128 v[8:11], v179                                 // 00000000349C: D9FE0000 080000B3
	ds_read_b128 v[16:19], v179 offset:64                      // 0000000034A4: D9FE0040 100000B3
	ds_read_b128 v[12:15], v179 offset:512                     // 0000000034AC: D9FE0200 0C0000B3
	ds_read_b128 v[20:23], v179 offset:576                     // 0000000034B4: D9FE0240 140000B3
	ds_read_b32 v168, v184                                     // 0000000034BC: D86C0000 A80000B8
	ds_read_b128 v[24:27], v180                                // 0000000034C4: D9FE0000 180000B4
	ds_read_b128 v[32:35], v180 offset:64                      // 0000000034CC: D9FE0040 200000B4
	ds_read_b128 v[28:31], v180 offset:512                     // 0000000034D4: D9FE0200 1C0000B4
	ds_read_b128 v[36:39], v180 offset:576                     // 0000000034DC: D9FE0240 240000B4
	ds_read_b32 v169, v184 offset:1024                         // 0000000034E4: D86C0400 A90000B8
	s_nop 0                                                    // 0000000034EC: BF800000
	s_nop 0                                                    // 0000000034F0: BF800000
	s_nop 0                                                    // 0000000034F4: BF800000
	s_nop 0                                                    // 0000000034F8: BF800000
	s_nop 0                                                    // 0000000034FC: BF800000
	s_lshl_b32 s36, s36, 1                                     // 000000003500: 8E248124
	s_mul_i32 s62, s48, 32                                     // 000000003504: 923EA030
	s_mul_hi_u32 s63, s36, s62                                 // 000000003508: 963F3E24
	s_add_u32 s5, s5, s63                                      // 00000000350C: 80053F05
	s_mul_i32 s63, s36, s62                                    // 000000003510: 923F3E24
	s_add_u32 s4, s4, s63                                      // 000000003514: 80043F04
	s_addc_u32 s5, s5, 0                                       // 000000003518: 82058005
	s_mul_i32 s63, s47, 0x300                                  // 00000000351C: 923FFF2F 00000300
	s_lshl_b32 s63, s63, 1                                     // 000000003524: 8E3F813F
	s_add_u32 s4, s4, s63                                      // 000000003528: 80043F04
	s_addc_u32 s5, s5, 0                                       // 00000000352C: 82058005
	s_sub_i32 s62, s43, s62                                    // 000000003530: 81BE3E2B
	s_cmp_lt_u32 s62, 32                                       // 000000003534: BF0AA03E
	s_cselect_b32 s62, s62, 32                                 // 000000003538: 853EA03E
	s_mul_i32 s62, s36, s62                                    // 00000000353C: 923E3E24
	s_sub_i32 s6, s62, s63                                     // 000000003540: 81863F3E
	s_mov_b32 s7, 0x20000                                      // 000000003544: BE8700FF 00020000
	s_mul_i32 s62, s46, 0xc0                                   // 00000000354C: 923EFF2E 000000C0
	s_lshl_b32 s62, s62, 1                                     // 000000003554: 8E3E813E
	v_lshrrev_b32_e32 v4, 5, v0                                // 000000003558: 20080085
	v_mul_i32_i24_e32 v4, 16, v4                               // 00000000355C: 0C080890
	v_lshrrev_b32_e32 v5, 4, v0                                // 000000003560: 200A0084
	v_and_b32_e32 v5, 1, v5                                    // 000000003564: 260A0A81
	v_mul_i32_i24_e32 v5, 32, v5                               // 000000003568: 0C0A0AA0
	v_add_u32_e32 v4, v4, v5                                   // 00000000356C: 68080B04
	v_and_b32_e32 v5, 15, v0                                   // 000000003570: 260A008F
	v_mul_lo_u32 v203, s36, v5                                 // 000000003574: D28500CB 00020A24
	v_add_u32_e32 v203, s62, v203                              // 00000000357C: 6997963E
	v_add_u32_e32 v203, v4, v203                               // 000000003580: 69979704
	s_cmp_lt_i32 s46, 2                                        // 000000003584: BF04822E
	s_cbranch_scc0 label_071A                                  // 000000003588: BF8404B7

000000000000358c <label_0263>:
	s_waitcnt vmcnt(10) lgkmcnt(5)                             // 00000000358C: BF8C057A
	v_mfma_scale_f32_16x16x128_f8f6f4 a[0:3], v[72:75], v[8:11], a[0:3], v172, v168 op_sel_hi:[0,0,0] cbsz:4 blgp:4// 000000003590: D3AC6000 000351AC D3AD8C00 84021148
	v_mfma_scale_f32_16x16x128_f8f6f4 a[4:7], v[72:75], v[12:15], a[4:7], v172, v168 op_sel_hi:[0,0,0] cbsz:4 blgp:4// 0000000035A0: D3AC7000 000351AC D3AD8C04 84121948
	buffer_load_dwordx4 v[120:123], v191, s[16:19], 0 offen    // 0000000035B0: E05C1000 800478BF
	v_mfma_scale_f32_16x16x128_f8f6f4 a[8:11], v[76:79], v[8:11], a[8:11], v172, v168 op_sel_hi:[0,0,0] cbsz:4 blgp:4// 0000000035B8: D3AC0800 000351AC D3AD8C08 8422114C
	v_mfma_scale_f32_16x16x128_f8f6f4 a[12:15], v[76:79], v[12:15], a[12:15], v172, v168 op_sel_hi:[0,0,0] cbsz:4 blgp:4// 0000000035C8: D3AC7800 000351AC D3AD8C0C 8432194C
	buffer_load_dwordx4 v[124:127], v192, s[16:19], 0 offen    // 0000000035D8: E05C1000 80047CC0
	v_mfma_scale_f32_16x16x128_f8f6f4 a[0:3], v[80:83], v[16:19], a[0:3], v172, v168 op_sel_hi:[0,0,0] cbsz:4 blgp:4// 0000000035E0: D3AC6000 180351AC D3AD8C00 84022150
	v_mfma_scale_f32_16x16x128_f8f6f4 a[4:7], v[80:83], v[20:23], a[4:7], v172, v168 op_sel_hi:[0,0,0] cbsz:4 blgp:4// 0000000035F0: D3AC7000 180351AC D3AD8C04 84122950
	buffer_load_dwordx4 v[128:131], v191, s[16:19], 0 offen offset:1024// 000000003600: E05C1400 800480BF
	v_mfma_scale_f32_16x16x128_f8f6f4 a[8:11], v[84:87], v[16:19], a[8:11], v172, v168 op_sel_hi:[0,0,0] cbsz:4 blgp:4// 000000003608: D3AC6800 180351AC D3AD8C08 84222154
	v_mfma_scale_f32_16x16x128_f8f6f4 a[12:15], v[84:87], v[20:23], a[12:15], v172, v168 op_sel_hi:[0,0,0] cbsz:4 blgp:4// 000000003618: D3AC7800 180351AC D3AD8C0C 84322954
	buffer_load_dwordx4 v[132:135], v192, s[16:19], 0 offen offset:1024// 000000003628: E05C1400 800484C0
	buffer_load_dword v175, v200, s[24:27], 0 offen            // 000000003630: E0501000 8006AFC8
	s_waitcnt vmcnt(10)                                        // 000000003638: BF8C0F7A
	v_mfma_scale_f32_16x16x128_f8f6f4 a[16:19], v[88:91], v[8:11], a[16:19], v173, v168 op_sel_hi:[0,0,0] cbsz:4 blgp:4// 00000000363C: D3AC6000 000351AD D3AD8C10 84421158
	v_mfma_scale_f32_16x16x128_f8f6f4 a[20:23], v[88:91], v[12:15], a[20:23], v173, v168 op_sel_hi:[0,0,0] cbsz:4 blgp:4// 00000000364C: D3AC7000 000351AD D3AD8C14 84521958
	buffer_load_dwordx4 v[136:139], v193, s[16:19], 0 offen    // 00000000365C: E05C1000 800488C1
	v_mfma_scale_f32_16x16x128_f8f6f4 a[24:27], v[92:95], v[8:11], a[24:27], v173, v168 op_sel_hi:[0,0,0] cbsz:4 blgp:4// 000000003664: D3AC6800 000351AD D3AD8C18 8462115C
	v_mfma_scale_f32_16x16x128_f8f6f4 a[28:31], v[92:95], v[12:15], a[28:31], v173, v168 op_sel_hi:[0,0,0] cbsz:4 blgp:4// 000000003674: D3AC7800 000351AD D3AD8C1C 8472195C
	buffer_load_dwordx4 v[140:143], v194, s[16:19], 0 offen    // 000000003684: E05C1000 80048CC2
	v_mfma_scale_f32_16x16x128_f8f6f4 a[16:19], v[96:99], v[16:19], a[16:19], v173, v168 op_sel_hi:[0,0,0] cbsz:4 blgp:4// 00000000368C: D3AC6000 180351AD D3AD8C10 84422160
	v_mfma_scale_f32_16x16x128_f8f6f4 a[20:23], v[96:99], v[20:23], a[20:23], v173, v168 op_sel_hi:[0,0,0] cbsz:4 blgp:4// 00000000369C: D3AC7000 180351AD D3AD8C14 84522960
	buffer_load_dwordx4 v[144:147], v193, s[16:19], 0 offen offset:1024// 0000000036AC: E05C1400 800490C1
	v_mfma_scale_f32_16x16x128_f8f6f4 a[24:27], v[100:103], v[16:19], a[24:27], v173, v168 op_sel_hi:[0,0,0] cbsz:4 blgp:4// 0000000036B4: D3AC6800 180351AD D3AD8C18 84622164
	v_mfma_scale_f32_16x16x128_f8f6f4 a[28:31], v[100:103], v[20:23], a[28:31], v173, v168 op_sel_hi:[0,0,0] cbsz:4 blgp:4// 0000000036C4: D3AC7800 180351AD D3AD8C1C 84722964
	buffer_load_dwordx4 v[148:151], v194, s[16:19], 0 offen offset:1024// 0000000036D4: E05C1400 800494C2
	buffer_load_dword v176, v201, s[24:27], 0 offen            // 0000000036DC: E0501000 8006B0C9
	s_waitcnt vmcnt(10)                                        // 0000000036E4: BF8C0F7A
	v_mfma_scale_f32_16x16x128_f8f6f4 a[32:35], v[104:107], v[8:11], a[32:35], v174, v168 op_sel_hi:[0,0,0] cbsz:4 blgp:4// 0000000036E8: D3AC6000 000351AE D3AD8C20 84821168
	s_add_u32 s63, 0x100, s60                                  // 0000000036F8: 803F3CFF 00000100
	s_cmp_lt_u32 s63, s61                                      // 000000003700: BF0A3D3F
	v_mfma_scale_f32_16x16x128_f8f6f4 a[36:39], v[104:107], v[12:15], a[36:39], v174, v168 op_sel_hi:[0,0,0] cbsz:4 blgp:4// 000000003704: D3AC7000 000351AE D3AD8C24 84921968
	s_cselect_b32 s67, s67, 0                                  // 000000003714: 85438043
	buffer_load_dwordx4 v[152:155], v195, s[16:19], 0 offen    // 000000003718: E05C1000 800498C3
	v_mfma_scale_f32_16x16x128_f8f6f4 a[40:43], v[108:111], v[8:11], a[40:43], v174, v168 op_sel_hi:[0,0,0] cbsz:4 blgp:4// 000000003720: D3AC6800 000351AE D3AD8C28 84A2116C
	s_cselect_b32 s69, s69, 0                                  // 000000003730: 85458045
	v_mfma_scale_f32_16x16x128_f8f6f4 a[44:47], v[108:111], v[12:15], a[44:47], v174, v168 op_sel_hi:[0,0,0] cbsz:4 blgp:4// 000000003734: D3AC7800 000351AE D3AD8C2C 84B2196C
	buffer_load_dwordx4 v[156:159], v196, s[16:19], 0 offen    // 000000003744: E05C1000 80049CC4
	v_mfma_scale_f32_16x16x128_f8f6f4 a[32:35], v[112:115], v[16:19], a[32:35], v174, v168 op_sel_hi:[0,0,0] cbsz:4 blgp:4// 00000000374C: D3AC6000 180351AE D3AD8C20 84822170
	v_mfma_scale_f32_16x16x128_f8f6f4 a[36:39], v[112:115], v[20:23], a[36:39], v174, v168 op_sel_hi:[0,0,0] cbsz:4 blgp:4// 00000000375C: D3AC7000 180351AE D3AD8C24 84922970
	buffer_load_dwordx4 v[160:163], v195, s[16:19], 0 offen offset:1024// 00000000376C: E05C1400 8004A0C3
	v_mfma_scale_f32_16x16x128_f8f6f4 a[40:43], v[116:119], v[16:19], a[40:43], v174, v168 op_sel_hi:[0,0,0] cbsz:4 blgp:4// 000000003774: D3AC6800 180351AE D3AD8C28 84A22174
	v_mfma_scale_f32_16x16x128_f8f6f4 a[44:47], v[116:119], v[20:23], a[44:47], v174, v168 op_sel_hi:[0,0,0] cbsz:4 blgp:4// 000000003784: D3AC7800 180351AE D3AD8C2C 84B22974
	buffer_load_dwordx4 v[164:167], v196, s[16:19], 0 offen offset:1024// 000000003794: E05C1400 8004A4C4
	buffer_load_dword v177, v202, s[24:27], 0 offen            // 00000000379C: E0501000 8006B1CA
	s_add_u32 s16, s16, s67                                    // 0000000037A4: 80104310
	s_addc_u32 s17, 0, s17                                     // 0000000037A8: 82111180
	s_sub_u32 s18, s18, s67                                    // 0000000037AC: 80924312
	s_add_u32 s24, s24, s69                                    // 0000000037B0: 80184518
	s_addc_u32 s25, 0, s25                                     // 0000000037B4: 82191980
	s_sub_u32 s26, s26, s69                                    // 0000000037B8: 809A451A
	s_add_u32 m0, 0x800, s65                                   // 0000000037BC: 807C41FF 00000800
	buffer_load_dword v183, s[20:23], 0 offen lds              // 0000000037C4: E0511000 800500B7
	s_waitcnt vmcnt(11)                                        // 0000000037CC: BF8C0F7B
	v_mfma_scale_f32_16x16x128_f8f6f4 a[48:51], v[120:123], v[8:11], a[48:51], v175, v168 op_sel_hi:[0,0,0] cbsz:4 blgp:4// 0000000037D0: D3AC6000 000351AF D3AD8C30 84C21178
	v_mfma_scale_f32_16x16x128_f8f6f4 a[52:55], v[120:123], v[12:15], a[52:55], v175, v168 op_sel_hi:[0,0,0] cbsz:4 blgp:4// 0000000037E0: D3AC7000 000351AF D3AD8C34 84D21978
	s_add_u32 m0, 0x2100, s64                                  // 0000000037F0: 807C40FF 00002100
	buffer_load_dwordx4 v178, s[12:15], 0 offen lds            // 0000000037F8: E05D1000 800300B2
	v_mfma_scale_f32_16x16x128_f8f6f4 a[56:59], v[124:127], v[8:11], a[56:59], v175, v168 op_sel_hi:[0,0,0] cbsz:4 blgp:4// 000000003800: D3AC6800 000351AF D3AD8C38 84E2117C
	s_add_u32 s62, 0x300, s60                                  // 000000003810: 803E3CFF 00000300
	s_cmp_lt_u32 s62, s61                                      // 000000003818: BF0A3D3E
	v_mfma_scale_f32_16x16x128_f8f6f4 a[60:63], v[124:127], v[12:15], a[60:63], v175, v168 op_sel_hi:[0,0,0] cbsz:4 blgp:4// 00000000381C: D3AC7800 000351AF D3AD8C3C 84F2197C
	s_cselect_b32 s66, s66, 0                                  // 00000000382C: 85428042
	buffer_load_dwordx4 v[72:75], v185, s[16:19], 0 offen      // 000000003830: E05C1000 800448B9
	v_mfma_scale_f32_16x16x128_f8f6f4 a[48:51], v[128:131], v[16:19], a[48:51], v175, v168 op_sel_hi:[0,0,0] cbsz:4 blgp:4// 000000003838: D3AC6000 180351AF D3AD8C30 84C22180
	s_cselect_b32 s68, s68, 0                                  // 000000003848: 85448044
	s_add_u32 s12, s12, s66                                    // 00000000384C: 800C420C
	v_mfma_scale_f32_16x16x128_f8f6f4 a[52:55], v[128:131], v[20:23], a[52:55], v175, v168 op_sel_hi:[0,0,0] cbsz:4 blgp:4// 000000003850: D3AC7000 180351AF D3AD8C34 84D22980
	s_addc_u32 s13, 0, s13                                     // 000000003860: 820D0D80
	buffer_load_dwordx4 v[76:79], v186, s[16:19], 0 offen      // 000000003864: E05C1000 80044CBA
	v_mfma_scale_f32_16x16x128_f8f6f4 a[56:59], v[132:135], v[16:19], a[56:59], v175, v168 op_sel_hi:[0,0,0] cbsz:4 blgp:4// 00000000386C: D3AC6800 180351AF D3AD8C38 84E22184
	s_sub_u32 s14, s14, s66                                    // 00000000387C: 808E420E
	s_add_u32 s20, s20, s68                                    // 000000003880: 80144414
	v_mfma_scale_f32_16x16x128_f8f6f4 a[60:63], v[132:135], v[20:23], a[60:63], v175, v168 op_sel_hi:[0,0,0] cbsz:4 blgp:4// 000000003884: D3AC7800 180351AF D3AD8C3C 84F22984
	s_addc_u32 s21, 0, s21                                     // 000000003894: 82151580
	buffer_load_dwordx4 v[80:83], v185, s[16:19], 0 offen offset:1024// 000000003898: E05C1400 800450B9
	s_sub_u32 s22, s22, s68                                    // 0000000038A0: 80964416
	buffer_load_dwordx4 v[84:87], v186, s[16:19], 0 offen offset:1024// 0000000038A4: E05C1400 800454BA
	buffer_load_dword v172, v197, s[24:27], 0 offen            // 0000000038AC: E0501000 8006ACC5
	s_waitcnt vmcnt(12)                                        // 0000000038B4: BF8C0F7C
	v_mfma_scale_f32_16x16x128_f8f6f4 a[64:67], v[136:139], v[8:11], a[64:67], v176, v168 op_sel_hi:[0,0,0] cbsz:4 blgp:4// 0000000038B8: D3AC6000 000351B0 D3AD8C40 85021188
	v_mfma_scale_f32_16x16x128_f8f6f4 a[68:71], v[136:139], v[12:15], a[68:71], v176, v168 op_sel_hi:[0,0,0] cbsz:4 blgp:4// 0000000038C8: D3AC7000 000351B0 D3AD8C44 85121988
	buffer_load_dwordx4 v[88:91], v187, s[16:19], 0 offen      // 0000000038D8: E05C1000 800458BB
	v_mfma_scale_f32_16x16x128_f8f6f4 a[72:75], v[140:143], v[8:11], a[72:75], v176, v168 op_sel_hi:[0,0,0] cbsz:4 blgp:4// 0000000038E0: D3AC6800 000351B0 D3AD8C48 8522118C
	v_mfma_scale_f32_16x16x128_f8f6f4 a[76:79], v[140:143], v[12:15], a[76:79], v176, v168 op_sel_hi:[0,0,0] cbsz:4 blgp:4// 0000000038F0: D3AC7800 000351B0 D3AD8C4C 8532198C
	buffer_load_dwordx4 v[92:95], v188, s[16:19], 0 offen      // 000000003900: E05C1000 80045CBC
	v_mfma_scale_f32_16x16x128_f8f6f4 a[64:67], v[144:147], v[16:19], a[64:67], v176, v168 op_sel_hi:[0,0,0] cbsz:4 blgp:4// 000000003908: D3AC6000 180351B0 D3AD8C40 85022190
	v_mfma_scale_f32_16x16x128_f8f6f4 a[68:71], v[144:147], v[20:23], a[68:71], v176, v168 op_sel_hi:[0,0,0] cbsz:4 blgp:4// 000000003918: D3AC7000 180351B0 D3AD8C44 85122990
	buffer_load_dwordx4 v[96:99], v187, s[16:19], 0 offen offset:1024// 000000003928: E05C1400 800460BB
	v_mfma_scale_f32_16x16x128_f8f6f4 a[72:75], v[148:151], v[16:19], a[72:75], v176, v168 op_sel_hi:[0,0,0] cbsz:4 blgp:4// 000000003930: D3AC6800 180351B0 D3AD8C48 85222194
	v_mfma_scale_f32_16x16x128_f8f6f4 a[76:79], v[148:151], v[20:23], a[76:79], v176, v168 op_sel_hi:[0,0,0] cbsz:4 blgp:4// 000000003940: D3AC7800 180351B0 D3AD8C4C 85322994
	buffer_load_dwordx4 v[100:103], v188, s[16:19], 0 offen offset:1024// 000000003950: E05C1400 800464BC
	buffer_load_dword v173, v198, s[24:27], 0 offen            // 000000003958: E0501000 8006ADC6
	s_waitcnt vmcnt(10)                                        // 000000003960: BF8C0F7A
	s_barrier                                                  // 000000003964: BF8A0000
	v_mfma_scale_f32_16x16x128_f8f6f4 a[80:83], v[152:155], v[8:11], a[80:83], v177, v168 op_sel_hi:[0,0,0] cbsz:4 blgp:4// 000000003968: D3AC6000 000351B1 D3AD8C50 85421198
	s_addk_i32 s60, 0x100                                      // 000000003978: B73C0100
	ds_read_b128 v[40:43], v181                                // 00000000397C: D9FE0000 280000B5
	v_mfma_scale_f32_16x16x128_f8f6f4 a[84:87], v[152:155], v[12:15], a[84:87], v177, v168 op_sel_hi:[0,0,0] cbsz:4 blgp:4// 000000003984: D3AC7000 000351B1 D3AD8C54 85521998
	s_cmp_lt_i32 s60, s61                                      // 000000003994: BF043D3C
	buffer_load_dwordx4 v[104:107], v189, s[16:19], 0 offen    // 000000003998: E05C1000 800468BD
	v_mfma_scale_f32_16x16x128_f8f6f4 a[88:91], v[156:159], v[8:11], a[88:91], v177, v168 op_sel_hi:[0,0,0] cbsz:4 blgp:4// 0000000039A0: D3AC6800 000351B1 D3AD8C58 8562119C
	ds_read_b128 v[48:51], v181 offset:64                      // 0000000039B0: D9FE0040 300000B5
	v_mfma_scale_f32_16x16x128_f8f6f4 a[92:95], v[156:159], v[12:15], a[92:95], v177, v168 op_sel_hi:[0,0,0] cbsz:4 blgp:4// 0000000039B8: D3AC7800 000351B1 D3AD8C5C 8572199C
	buffer_load_dwordx4 v[108:111], v190, s[16:19], 0 offen    // 0000000039C8: E05C1000 80046CBE
	v_mfma_scale_f32_16x16x128_f8f6f4 a[80:83], v[160:163], v[16:19], a[80:83], v177, v168 op_sel_hi:[0,0,0] cbsz:4 blgp:4// 0000000039D0: D3AC6000 180351B1 D3AD8C50 854221A0
	ds_read_b128 v[44:47], v181 offset:512                     // 0000000039E0: D9FE0200 2C0000B5
	v_mfma_scale_f32_16x16x128_f8f6f4 a[84:87], v[160:163], v[20:23], a[84:87], v177, v168 op_sel_hi:[0,0,0] cbsz:4 blgp:4// 0000000039E8: D3AC7000 180351B1 D3AD8C54 855229A0
	buffer_load_dwordx4 v[112:115], v189, s[16:19], 0 offen offset:1024// 0000000039F8: E05C1400 800470BD
	v_mfma_scale_f32_16x16x128_f8f6f4 a[88:91], v[164:167], v[16:19], a[88:91], v177, v168 op_sel_hi:[0,0,0] cbsz:4 blgp:4// 000000003A00: D3AC6800 180351B1 D3AD8C58 856221A4
	ds_read_b128 v[52:55], v181 offset:576                     // 000000003A10: D9FE0240 340000B5
	v_mfma_scale_f32_16x16x128_f8f6f4 a[92:95], v[164:167], v[20:23], a[92:95], v177, v168 op_sel_hi:[0,0,0] cbsz:4 blgp:4// 000000003A18: D3AC7800 180351B1 D3AD8C5C 857229A4
	buffer_load_dwordx4 v[116:119], v190, s[16:19], 0 offen offset:1024// 000000003A28: E05C1400 800474BE
	ds_read_b32 v170, v184 offset:2048                         // 000000003A30: D86C0800 AA0000B8
	buffer_load_dword v174, v199, s[24:27], 0 offen            // 000000003A38: E0501000 8006AEC7
	s_cbranch_scc0 label_0BD1                                  // 000000003A40: BF840840
	s_waitcnt vmcnt(10) lgkmcnt(5)                             // 000000003A44: BF8C057A
	v_mfma_scale_f32_16x16x128_f8f6f4 a[0:3], v[72:75], v[24:27], a[0:3], v172, v169 op_sel_hi:[0,0,0] cbsz:4 blgp:4// 000000003A48: D3AC6000 000353AC D3AD8C00 84023148
	v_mfma_scale_f32_16x16x128_f8f6f4 a[4:7], v[72:75], v[28:31], a[4:7], v172, v169 op_sel_hi:[0,0,0] cbsz:4 blgp:4// 000000003A58: D3AC7000 000353AC D3AD8C04 84123948
	buffer_load_dwordx4 v[120:123], v191, s[16:19], 0 offen    // 000000003A68: E05C1000 800478BF
	v_mfma_scale_f32_16x16x128_f8f6f4 a[8:11], v[76:79], v[24:27], a[8:11], v172, v169 op_sel_hi:[0,0,0] cbsz:4 blgp:4// 000000003A70: D3AC6800 000353AC D3AD8C08 8422314C
	v_mfma_scale_f32_16x16x128_f8f6f4 a[12:15], v[76:79], v[28:31], a[12:15], v172, v169 op_sel_hi:[0,0,0] cbsz:4 blgp:4// 000000003A80: D3AC7800 000353AC D3AD8C0C 8432394C
	buffer_load_dwordx4 v[124:127], v192, s[16:19], 0 offen    // 000000003A90: E05C1000 80047CC0
	v_mfma_scale_f32_16x16x128_f8f6f4 a[0:3], v[80:83], v[32:35], a[0:3], v172, v169 op_sel_hi:[0,0,0] cbsz:4 blgp:4// 000000003A98: D3AC6000 180353AC D3AD8C00 84024150
	v_mfma_scale_f32_16x16x128_f8f6f4 a[4:7], v[80:83], v[36:39], a[4:7], v172, v169 op_sel_hi:[0,0,0] cbsz:4 blgp:4// 000000003AA8: D3AC7000 180353AC D3AD8C04 84124950
	buffer_load_dwordx4 v[128:131], v191, s[16:19], 0 offen offset:1024// 000000003AB8: E05C1400 800480BF
	v_mfma_scale_f32_16x16x128_f8f6f4 a[8:11], v[84:87], v[32:35], a[8:11], v172, v169 op_sel_hi:[0,0,0] cbsz:4 blgp:4// 000000003AC0: D3AC6800 180353AC D3AD8C08 84224154
	v_mfma_scale_f32_16x16x128_f8f6f4 a[12:15], v[84:87], v[36:39], a[12:15], v172, v169 op_sel_hi:[0,0,0] cbsz:4 blgp:4// 000000003AD0: D3AC7800 180353AC D3AD8C0C 84324954
	buffer_load_dwordx4 v[132:135], v192, s[16:19], 0 offen offset:1024// 000000003AE0: E05C1400 800484C0
	buffer_load_dword v175, v200, s[24:27], 0 offen            // 000000003AE8: E0501000 8006AFC8
	s_waitcnt vmcnt(10)                                        // 000000003AF0: BF8C0F7A
	v_mfma_scale_f32_16x16x128_f8f6f4 a[16:19], v[88:91], v[24:27], a[16:19], v173, v169 op_sel_hi:[0,0,0] cbsz:4 blgp:4// 000000003AF4: D3AC6000 000353AD D3AD8C10 84423158
	v_mfma_scale_f32_16x16x128_f8f6f4 a[20:23], v[88:91], v[28:31], a[20:23], v173, v169 op_sel_hi:[0,0,0] cbsz:4 blgp:4// 000000003B04: D3AC7000 000353AD D3AD8C14 84523958
	buffer_load_dwordx4 v[136:139], v193, s[16:19], 0 offen    // 000000003B14: E05C1000 800488C1
	v_mfma_scale_f32_16x16x128_f8f6f4 a[24:27], v[92:95], v[24:27], a[24:27], v173, v169 op_sel_hi:[0,0,0] cbsz:4 blgp:4// 000000003B1C: D3AC6800 000353AD D3AD8C18 8462315C
	v_mfma_scale_f32_16x16x128_f8f6f4 a[28:31], v[92:95], v[28:31], a[28:31], v173, v169 op_sel_hi:[0,0,0] cbsz:4 blgp:4// 000000003B2C: D3AC7800 000353AD D3AD8C1C 8472395C
	buffer_load_dwordx4 v[140:143], v194, s[16:19], 0 offen    // 000000003B3C: E05C1000 80048CC2
	v_mfma_scale_f32_16x16x128_f8f6f4 a[16:19], v[96:99], v[32:35], a[16:19], v173, v169 op_sel_hi:[0,0,0] cbsz:4 blgp:4// 000000003B44: D3AC6000 180353AD D3AD8C10 84424160
	v_mfma_scale_f32_16x16x128_f8f6f4 a[20:23], v[96:99], v[36:39], a[20:23], v173, v169 op_sel_hi:[0,0,0] cbsz:4 blgp:4// 000000003B54: D3AC7000 180353AD D3AD8C14 84524960
	buffer_load_dwordx4 v[144:147], v193, s[16:19], 0 offen offset:1024// 000000003B64: E05C1400 800490C1
	v_mfma_scale_f32_16x16x128_f8f6f4 a[24:27], v[100:103], v[32:35], a[24:27], v173, v169 op_sel_hi:[0,0,0] cbsz:4 blgp:4// 000000003B6C: D3AC6800 180353AD D3AD8C18 84624164
	v_mfma_scale_f32_16x16x128_f8f6f4 a[28:31], v[100:103], v[36:39], a[28:31], v173, v169 op_sel_hi:[0,0,0] cbsz:4 blgp:4// 000000003B7C: D3AC7800 180353AD D3AD8C1C 84724964
	buffer_load_dwordx4 v[148:151], v194, s[16:19], 0 offen offset:1024// 000000003B8C: E05C1400 800494C2
	buffer_load_dword v176, v201, s[24:27], 0 offen            // 000000003B94: E0501000 8006B0C9
	s_waitcnt vmcnt(10)                                        // 000000003B9C: BF8C0F7A
	v_mfma_scale_f32_16x16x128_f8f6f4 a[32:35], v[104:107], v[24:27], a[32:35], v174, v169 op_sel_hi:[0,0,0] cbsz:4 blgp:4// 000000003BA0: D3AC6000 000353AE D3AD8C20 84823168
	s_add_u32 s63, 0x100, s60                                  // 000000003BB0: 803F3CFF 00000100
	s_cmp_lt_u32 s63, s61                                      // 000000003BB8: BF0A3D3F
	v_mfma_scale_f32_16x16x128_f8f6f4 a[36:39], v[104:107], v[28:31], a[36:39], v174, v169 op_sel_hi:[0,0,0] cbsz:4 blgp:4// 000000003BBC: D3AC7000 000353AE D3AD8C24 84923968
	s_cselect_b32 s67, s67, 0                                  // 000000003BCC: 85438043
	buffer_load_dwordx4 v[152:155], v195, s[16:19], 0 offen    // 000000003BD0: E05C1000 800498C3
	v_mfma_scale_f32_16x16x128_f8f6f4 a[40:43], v[108:111], v[24:27], a[40:43], v174, v169 op_sel_hi:[0,0,0] cbsz:4 blgp:4// 000000003BD8: D3AC6800 000353AE D3AD8C28 84A2316C
	s_cselect_b32 s69, s69, 0                                  // 000000003BE8: 85458045
	v_mfma_scale_f32_16x16x128_f8f6f4 a[44:47], v[108:111], v[28:31], a[44:47], v174, v169 op_sel_hi:[0,0,0] cbsz:4 blgp:4// 000000003BEC: D3AC5800 000353AE D3AD8C2C 84B2396C
	buffer_load_dwordx4 v[156:159], v196, s[16:19], 0 offen    // 000000003BFC: E05C1000 80049CC4
	v_mfma_scale_f32_16x16x128_f8f6f4 a[32:35], v[112:115], v[32:35], a[32:35], v174, v169 op_sel_hi:[0,0,0] cbsz:4 blgp:4// 000000003C04: D3AC6000 180353AE D3AD8C20 84824170
	v_mfma_scale_f32_16x16x128_f8f6f4 a[36:39], v[112:115], v[36:39], a[36:39], v174, v169 op_sel_hi:[0,0,0] cbsz:4 blgp:4// 000000003C14: D3AC5000 180353AE D3AD8C24 84924970
	buffer_load_dwordx4 v[160:163], v195, s[16:19], 0 offen offset:1024// 000000003C24: E05C1400 8004A0C3
	v_mfma_scale_f32_16x16x128_f8f6f4 a[40:43], v[116:119], v[32:35], a[40:43], v174, v169 op_sel_hi:[0,0,0] cbsz:4 blgp:4// 000000003C2C: D3AC6800 180353AE D3AD8C28 84A24174
	v_mfma_scale_f32_16x16x128_f8f6f4 a[44:47], v[116:119], v[36:39], a[44:47], v174, v169 op_sel_hi:[0,0,0] cbsz:4 blgp:4// 000000003C3C: D3AC5800 180353AE D3AD8C2C 84B24974
	buffer_load_dwordx4 v[164:167], v196, s[16:19], 0 offen offset:1024// 000000003C4C: E05C1400 8004A4C4
	buffer_load_dword v177, v202, s[24:27], 0 offen            // 000000003C54: E0501000 8006B1CA
	s_add_u32 s16, s16, s67                                    // 000000003C5C: 80104310
	s_addc_u32 s17, 0, s17                                     // 000000003C60: 82111180
	s_sub_u32 s18, s18, s67                                    // 000000003C64: 80924312
	s_add_u32 s24, s24, s69                                    // 000000003C68: 80184518
	s_addc_u32 s25, 0, s25                                     // 000000003C6C: 82191980
	s_sub_u32 s26, s26, s69                                    // 000000003C70: 809A451A
	s_add_u32 m0, 0xc00, s65                                   // 000000003C74: 807C41FF 00000C00
	buffer_load_dword v183, s[20:23], 0 offen lds              // 000000003C7C: E0511000 800500B7
	s_waitcnt vmcnt(11)                                        // 000000003C84: BF8C0F7B
	v_mfma_scale_f32_16x16x128_f8f6f4 a[48:51], v[120:123], v[24:27], a[48:51], v175, v169 op_sel_hi:[0,0,0] cbsz:4 blgp:4// 000000003C88: D3AC6000 000353AF D3AD8C30 84C23178
	v_mfma_scale_f32_16x16x128_f8f6f4 a[52:55], v[120:123], v[28:31], a[52:55], v175, v169 op_sel_hi:[0,0,0] cbsz:4 blgp:4// 000000003C98: D3AC5000 000353AF D3AD8C34 84D23978
	s_add_u32 m0, 0x3180, s64                                  // 000000003CA8: 807C40FF 00003180
	buffer_load_dwordx4 v178, s[12:15], 0 offen lds            // 000000003CB0: E05D1000 800300B2
	v_mfma_scale_f32_16x16x128_f8f6f4 a[56:59], v[124:127], v[24:27], a[56:59], v175, v169 op_sel_hi:[0,0,0] cbsz:4 blgp:4// 000000003CB8: D3AC6800 000353AF D3AD8C38 84E2317C
	s_add_u32 s62, 0x300, s60                                  // 000000003CC8: 803E3CFF 00000300
	s_cmp_lt_u32 s62, s61                                      // 000000003CD0: BF0A3D3E
	v_mfma_scale_f32_16x16x128_f8f6f4 a[60:63], v[124:127], v[28:31], a[60:63], v175, v169 op_sel_hi:[0,0,0] cbsz:4 blgp:4// 000000003CD4: D3AC7800 000353AF D3AD8C3C 84F2397C
	s_cselect_b32 s66, s66, 0                                  // 000000003CE4: 85428042
	buffer_load_dwordx4 v[72:75], v185, s[16:19], 0 offen      // 000000003CE8: E05C1000 800448B9
	v_mfma_scale_f32_16x16x128_f8f6f4 a[48:51], v[128:131], v[32:35], a[48:51], v175, v169 op_sel_hi:[0,0,0] cbsz:4 blgp:4// 000000003CF0: D3AC6000 180353AF D3AD8C30 84C24180
	s_cselect_b32 s68, s68, 0                                  // 000000003D00: 85448044
	s_add_u32 s12, s12, s66                                    // 000000003D04: 800C420C
	v_mfma_scale_f32_16x16x128_f8f6f4 a[52:55], v[128:131], v[36:39], a[52:55], v175, v169 op_sel_hi:[0,0,0] cbsz:4 blgp:4// 000000003D08: D3AC7000 180353AF D3AD8C34 84D24980
	s_addc_u32 s13, 0, s13                                     // 000000003D18: 820D0D80
	buffer_load_dwordx4 v[76:79], v186, s[16:19], 0 offen      // 000000003D1C: E05C1000 80044CBA
	v_mfma_scale_f32_16x16x128_f8f6f4 a[56:59], v[132:135], v[32:35], a[56:59], v175, v169 op_sel_hi:[0,0,0] cbsz:4 blgp:4// 000000003D24: D3AC6800 180353AF D3AD8C38 84E24184
	s_sub_u32 s14, s14, s66                                    // 000000003D34: 808E420E
	s_add_u32 s20, s20, s68                                    // 000000003D38: 80144414
	v_mfma_scale_f32_16x16x128_f8f6f4 a[60:63], v[132:135], v[36:39], a[60:63], v175, v169 op_sel_hi:[0,0,0] cbsz:4 blgp:4// 000000003D3C: D3AC5800 180353AF D3AD8C3C 84F24984
	s_addc_u32 s21, 0, s21                                     // 000000003D4C: 82151580
	buffer_load_dwordx4 v[80:83], v185, s[16:19], 0 offen offset:1024// 000000003D50: E05C1400 800450B9
	s_sub_u32 s22, s22, s68                                    // 000000003D58: 80964416
	buffer_load_dwordx4 v[84:87], v186, s[16:19], 0 offen offset:1024// 000000003D5C: E05C1400 800454BA
	buffer_load_dword v172, v197, s[24:27], 0 offen            // 000000003D64: E0501000 8006ACC5
	s_waitcnt vmcnt(12)                                        // 000000003D6C: BF8C0F7C
	v_mfma_scale_f32_16x16x128_f8f6f4 a[64:67], v[136:139], v[24:27], a[64:67], v176, v169 op_sel_hi:[0,0,0] cbsz:4 blgp:4// 000000003D70: D3AC6000 000353B0 D3AD8C40 85023188
	v_mfma_scale_f32_16x16x128_f8f6f4 a[68:71], v[136:139], v[28:31], a[68:71], v176, v169 op_sel_hi:[0,0,0] cbsz:4 blgp:4// 000000003D80: D3AC5000 000353B0 D3AD8C44 85123988
	buffer_load_dwordx4 v[88:91], v187, s[16:19], 0 offen      // 000000003D90: E05C1000 800458BB
	v_mfma_scale_f32_16x16x128_f8f6f4 a[72:75], v[140:143], v[24:27], a[72:75], v176, v169 op_sel_hi:[0,0,0] cbsz:4 blgp:4// 000000003D98: D3AC6800 000353B0 D3AD8C48 8522318C
	v_mfma_scale_f32_16x16x128_f8f6f4 a[76:79], v[140:143], v[28:31], a[76:79], v176, v169 op_sel_hi:[0,0,0] cbsz:4 blgp:4// 000000003DA8: D3AC5800 000353B0 D3AD8C4C 8532398C
	buffer_load_dwordx4 v[92:95], v188, s[16:19], 0 offen      // 000000003DB8: E05C1000 80045CBC
	v_mfma_scale_f32_16x16x128_f8f6f4 a[64:67], v[144:147], v[32:35], a[64:67], v176, v169 op_sel_hi:[0,0,0] cbsz:4 blgp:4// 000000003DC0: D3AC6000 180353B0 D3AD8C40 85024190
	v_mfma_scale_f32_16x16x128_f8f6f4 a[68:71], v[144:147], v[36:39], a[68:71], v176, v169 op_sel_hi:[0,0,0] cbsz:4 blgp:4// 000000003DD0: D3AC5000 180353B0 D3AD8C44 85124990
	buffer_load_dwordx4 v[96:99], v187, s[16:19], 0 offen offset:1024// 000000003DE0: E05C1400 800460BB
	v_mfma_scale_f32_16x16x128_f8f6f4 a[72:75], v[148:151], v[32:35], a[72:75], v176, v169 op_sel_hi:[0,0,0] cbsz:4 blgp:4// 000000003DE8: D3AC6800 180353B0 D3AD8C48 85224194
	v_mfma_scale_f32_16x16x128_f8f6f4 a[76:79], v[148:151], v[36:39], a[76:79], v176, v169 op_sel_hi:[0,0,0] cbsz:4 blgp:4// 000000003DF8: D3AC5800 180353B0 D3AD8C4C 85324994
	buffer_load_dwordx4 v[100:103], v188, s[16:19], 0 offen offset:1024// 000000003E08: E05C1400 800464BC
	buffer_load_dword v173, v198, s[24:27], 0 offen            // 000000003E10: E0501000 8006ADC6
	s_waitcnt vmcnt(10)                                        // 000000003E18: BF8C0F7A
	s_barrier                                                  // 000000003E1C: BF8A0000
	v_mfma_scale_f32_16x16x128_f8f6f4 a[80:83], v[152:155], v[24:27], a[80:83], v177, v169 op_sel_hi:[0,0,0] cbsz:4 blgp:4// 000000003E20: D3AC6000 000353B1 D3AD8C50 85423198
	s_addk_i32 s60, 0x100                                      // 000000003E30: B73C0100
	ds_read_b128 v[56:59], v182                                // 000000003E34: D9FE0000 380000B6
	v_mfma_scale_f32_16x16x128_f8f6f4 a[84:87], v[152:155], v[28:31], a[84:87], v177, v169 op_sel_hi:[0,0,0] cbsz:4 blgp:4// 000000003E3C: D3AC7000 000353B1 D3AD8C54 85523998
	s_cmp_lt_i32 s60, s61                                      // 000000003E4C: BF043D3C
	buffer_load_dwordx4 v[104:107], v189, s[16:19], 0 offen    // 000000003E50: E05C1000 800468BD
	v_mfma_scale_f32_16x16x128_f8f6f4 a[88:91], v[156:159], v[24:27], a[88:91], v177, v169 op_sel_hi:[0,0,0] cbsz:4 blgp:4// 000000003E58: D3AC6800 000353B1 D3AD8C58 8562319C
	ds_read_b128 v[64:67], v182 offset:64                      // 000000003E68: D9FE0040 400000B6
	v_mfma_scale_f32_16x16x128_f8f6f4 a[92:95], v[156:159], v[28:31], a[92:95], v177, v169 op_sel_hi:[0,0,0] cbsz:4 blgp:4// 000000003E70: D3AC7800 000353B1 D3AD8C5C 8572399C
	buffer_load_dwordx4 v[108:111], v190, s[16:19], 0 offen    // 000000003E80: E05C1000 80046CBE
	v_mfma_scale_f32_16x16x128_f8f6f4 a[80:83], v[160:163], v[32:35], a[80:83], v177, v169 op_sel_hi:[0,0,0] cbsz:4 blgp:4// 000000003E88: D3AC6000 180353B1 D3AD8C50 854241A0
	ds_read_b128 v[60:63], v182 offset:512                     // 000000003E98: D9FE0200 3C0000B6
	v_mfma_scale_f32_16x16x128_f8f6f4 a[84:87], v[160:163], v[36:39], a[84:87], v177, v169 op_sel_hi:[0,0,0] cbsz:4 blgp:4// 000000003EA0: D3AC5000 180353B1 D3AD8C54 855249A0
	buffer_load_dwordx4 v[112:115], v189, s[16:19], 0 offen offset:1024// 000000003EB0: E05C1400 800470BD
	v_mfma_scale_f32_16x16x128_f8f6f4 a[88:91], v[164:167], v[32:35], a[88:91], v177, v169 op_sel_hi:[0,0,0] cbsz:4 blgp:4// 000000003EB8: D3AC6800 180353B1 D3AD8C58 856241A4
	ds_read_b128 v[68:71], v182 offset:576                     // 000000003EC8: D9FE0240 440000B6
	v_mfma_scale_f32_16x16x128_f8f6f4 a[92:95], v[164:167], v[36:39], a[92:95], v177, v169 op_sel_hi:[0,0,0] cbsz:4 blgp:4// 000000003ED0: D3AC7800 180353B1 D3AD8C5C 857249A4
	buffer_load_dwordx4 v[116:119], v190, s[16:19], 0 offen offset:1024// 000000003EE0: E05C1400 800474BE
	ds_read_b32 v171, v184 offset:3072                         // 000000003EE8: D86C0C00 AB0000B8
	buffer_load_dword v174, v199, s[24:27], 0 offen            // 000000003EF0: E0501000 8006AEC7
	s_cbranch_scc0 label_0BD1                                  // 000000003EF8: BF840712
	s_waitcnt vmcnt(10) lgkmcnt(5)                             // 000000003EFC: BF8C057A
	v_mfma_scale_f32_16x16x128_f8f6f4 a[0:3], v[72:75], v[40:43], a[0:3], v172, v170 op_sel_hi:[0,0,0] cbsz:4 blgp:4// 000000003F00: D3AC6000 000355AC D3AD8C00 84025148
	v_mfma_scale_f32_16x16x128_f8f6f4 a[4:7], v[72:75], v[44:47], a[4:7], v172, v170 op_sel_hi:[0,0,0] cbsz:4 blgp:4// 000000003F10: D3AC7000 000355AC D3AD8C04 84125948
	buffer_load_dwordx4 v[120:123], v191, s[16:19], 0 offen    // 000000003F20: E05C1000 800478BF
	v_mfma_scale_f32_16x16x128_f8f6f4 a[8:11], v[76:79], v[40:43], a[8:11], v172, v170 op_sel_hi:[0,0,0] cbsz:4 blgp:4// 000000003F28: D3AC6800 000355AC D3AD8C08 8422514C
	v_mfma_scale_f32_16x16x128_f8f6f4 a[12:15], v[76:79], v[44:47], a[12:15], v172, v170 op_sel_hi:[0,0,0] cbsz:4 blgp:4// 000000003F38: D3AC7800 000355AC D3AD8C0C 8432594C
	buffer_load_dwordx4 v[124:127], v192, s[16:19], 0 offen    // 000000003F48: E05C1000 80047CC0
	v_mfma_scale_f32_16x16x128_f8f6f4 a[0:3], v[80:83], v[48:51], a[0:3], v172, v170 op_sel_hi:[0,0,0] cbsz:4 blgp:4// 000000003F50: D3AC6000 180355AC D3AD8C00 84026150
	v_mfma_scale_f32_16x16x128_f8f6f4 a[4:7], v[80:83], v[52:55], a[4:7], v172, v170 op_sel_hi:[0,0,0] cbsz:4 blgp:4// 000000003F60: D3AC7000 180355AC D3AD8C04 84126950
	buffer_load_dwordx4 v[128:131], v191, s[16:19], 0 offen offset:1024// 000000003F70: E05C1400 800480BF
	v_mfma_scale_f32_16x16x128_f8f6f4 a[8:11], v[84:87], v[48:51], a[8:11], v172, v170 op_sel_hi:[0,0,0] cbsz:4 blgp:4// 000000003F78: D3AC6800 180355AC D3AD8C08 84226154
	v_mfma_scale_f32_16x16x128_f8f6f4 a[12:15], v[84:87], v[52:55], a[12:15], v172, v170 op_sel_hi:[0,0,0] cbsz:4 blgp:4// 000000003F88: D3AC7800 180355AC D3AD8C0C 84326954
	buffer_load_dwordx4 v[132:135], v192, s[16:19], 0 offen offset:1024// 000000003F98: E05C1400 800484C0
	buffer_load_dword v175, v200, s[24:27], 0 offen            // 000000003FA0: E0501000 8006AFC8
	s_waitcnt vmcnt(10)                                        // 000000003FA8: BF8C0F7A
	v_mfma_scale_f32_16x16x128_f8f6f4 a[16:19], v[88:91], v[40:43], a[16:19], v173, v170 op_sel_hi:[0,0,0] cbsz:4 blgp:4// 000000003FAC: D3AC6000 000355AD D3AD8C10 84425158
	v_mfma_scale_f32_16x16x128_f8f6f4 a[20:23], v[88:91], v[44:47], a[20:23], v173, v170 op_sel_hi:[0,0,0] cbsz:4 blgp:4// 000000003FBC: D3AC3000 000355AD D3AD8C14 84525958
	buffer_load_dwordx4 v[136:139], v193, s[16:19], 0 offen    // 000000003FCC: E05C1000 800488C1
	v_mfma_scale_f32_16x16x128_f8f6f4 a[24:27], v[92:95], v[40:43], a[24:27], v173, v170 op_sel_hi:[0,0,0] cbsz:4 blgp:4// 000000003FD4: D3AC6800 000355AD D3AD8C18 8462515C
	v_mfma_scale_f32_16x16x128_f8f6f4 a[28:31], v[92:95], v[44:47], a[28:31], v173, v170 op_sel_hi:[0,0,0] cbsz:4 blgp:4// 000000003FE4: D3AC7800 000355AD D3AD8C1C 8472595C
	buffer_load_dwordx4 v[140:143], v194, s[16:19], 0 offen    // 000000003FF4: E05C1000 80048CC2
	v_mfma_scale_f32_16x16x128_f8f6f4 a[16:19], v[96:99], v[48:51], a[16:19], v173, v170 op_sel_hi:[0,0,0] cbsz:4 blgp:4// 000000003FFC: D3AC6000 180355AD D3AD8C10 84426160
	v_mfma_scale_f32_16x16x128_f8f6f4 a[20:23], v[96:99], v[52:55], a[20:23], v173, v170 op_sel_hi:[0,0,0] cbsz:4 blgp:4// 00000000400C: D3AC7000 180355AD D3AD8C14 84526960
	buffer_load_dwordx4 v[144:147], v193, s[16:19], 0 offen offset:1024// 00000000401C: E05C1400 800490C1
	v_mfma_scale_f32_16x16x128_f8f6f4 a[24:27], v[100:103], v[48:51], a[24:27], v173, v170 op_sel_hi:[0,0,0] cbsz:4 blgp:4// 000000004024: D3AC6800 180355AD D3AD8C18 84626164
	v_mfma_scale_f32_16x16x128_f8f6f4 a[28:31], v[100:103], v[52:55], a[28:31], v173, v170 op_sel_hi:[0,0,0] cbsz:4 blgp:4// 000000004034: D3AC7800 180355AD D3AD8C1C 84726964
	buffer_load_dwordx4 v[148:151], v194, s[16:19], 0 offen offset:1024// 000000004044: E05C1400 800494C2
	buffer_load_dword v176, v201, s[24:27], 0 offen            // 00000000404C: E0501000 8006B0C9
	s_waitcnt vmcnt(10)                                        // 000000004054: BF8C0F7A
	v_mfma_scale_f32_16x16x128_f8f6f4 a[32:35], v[104:107], v[40:43], a[32:35], v174, v170 op_sel_hi:[0,0,0] cbsz:4 blgp:4// 000000004058: D3AC6000 000355AE D3AD8C20 84825168
	s_add_u32 s63, 0x100, s60                                  // 000000004068: 803F3CFF 00000100
	s_cmp_lt_u32 s63, s61                                      // 000000004070: BF0A3D3F
	v_mfma_scale_f32_16x16x128_f8f6f4 a[36:39], v[104:107], v[44:47], a[36:39], v174, v170 op_sel_hi:[0,0,0] cbsz:4 blgp:4// 000000004074: D3AC7000 000355AE D3AD8C24 84925968
	s_cselect_b32 s67, s67, 0                                  // 000000004084: 85438043
	buffer_load_dwordx4 v[152:155], v195, s[16:19], 0 offen    // 000000004088: E05C1000 800498C3
	v_mfma_scale_f32_16x16x128_f8f6f4 a[40:43], v[108:111], v[40:43], a[40:43], v174, v170 op_sel_hi:[0,0,0] cbsz:4 blgp:4// 000000004090: D3AC6800 000355AE D3AD8C28 84A2516C
	s_cselect_b32 s69, s69, 0                                  // 0000000040A0: 85458045
	v_mfma_scale_f32_16x16x128_f8f6f4 a[44:47], v[108:111], v[44:47], a[44:47], v174, v170 op_sel_hi:[0,0,0] cbsz:4 blgp:4// 0000000040A4: D3AC7800 000355AE D3AD8C2C 84B2596C
	buffer_load_dwordx4 v[156:159], v196, s[16:19], 0 offen    // 0000000040B4: E05C1000 80049CC4
	v_mfma_scale_f32_16x16x128_f8f6f4 a[32:35], v[112:115], v[48:51], a[32:35], v174, v170 op_sel_hi:[0,0,0] cbsz:4 blgp:4// 0000000040BC: D3AC6000 180355AE D3AD8C20 84826170
	v_mfma_scale_f32_16x16x128_f8f6f4 a[36:39], v[112:115], v[52:55], a[36:39], v174, v170 op_sel_hi:[0,0,0] cbsz:4 blgp:4// 0000000040CC: D3AC7000 180355AE D3AD8C24 84926970
	buffer_load_dwordx4 v[160:163], v195, s[16:19], 0 offen offset:1024// 0000000040DC: E05C1400 8004A0C3
	v_mfma_scale_f32_16x16x128_f8f6f4 a[40:43], v[116:119], v[48:51], a[40:43], v174, v170 op_sel_hi:[0,0,0] cbsz:4 blgp:4// 0000000040E4: D3AC6800 180355AE D3AD8C28 84A26174
	v_mfma_scale_f32_16x16x128_f8f6f4 a[44:47], v[116:119], v[52:55], a[44:47], v174, v170 op_sel_hi:[0,0,0] cbsz:4 blgp:4// 0000000040F4: D3AC7800 180355AE D3AD8C2C 84B26974
	buffer_load_dwordx4 v[164:167], v196, s[16:19], 0 offen offset:1024// 000000004104: E05C1400 8004A4C4
	buffer_load_dword v177, v202, s[24:27], 0 offen            // 00000000410C: E0501000 8006B1CA
	s_add_u32 s16, s16, s67                                    // 000000004114: 80104310
	s_addc_u32 s17, 0, s17                                     // 000000004118: 82111180
	s_sub_u32 s18, s18, s67                                    // 00000000411C: 80924312
	s_add_u32 s24, s24, s69                                    // 000000004120: 80184518
	s_addc_u32 s25, 0, s25                                     // 000000004124: 82191980
	s_sub_u32 s26, s26, s69                                    // 000000004128: 809A451A
	s_add_u32 m0, 0, s65                                       // 00000000412C: 807C4180
	buffer_load_dword v183, s[20:23], 0 offen lds              // 000000004130: E0511000 800500B7
	s_waitcnt vmcnt(11)                                        // 000000004138: BF8C0F7B
	v_mfma_scale_f32_16x16x128_f8f6f4 a[48:51], v[120:123], v[40:43], a[48:51], v175, v170 op_sel_hi:[0,0,0] cbsz:4 blgp:4// 00000000413C: D3AC6000 000355AF D3AD8C30 84C25178
	v_mfma_scale_f32_16x16x128_f8f6f4 a[52:55], v[120:123], v[44:47], a[52:55], v175, v170 op_sel_hi:[0,0,0] cbsz:4 blgp:4// 00000000414C: D3AC7000 000355AF D3AD8C34 84D25978
	s_add_u32 m0, 0, s64                                       // 00000000415C: 807C4080
	buffer_load_dwordx4 v178, s[12:15], 0 offen lds            // 000000004160: E05D1000 800300B2
	v_mfma_scale_f32_16x16x128_f8f6f4 a[56:59], v[124:127], v[40:43], a[56:59], v175, v170 op_sel_hi:[0,0,0] cbsz:4 blgp:4// 000000004168: D3AC6800 000355AF D3AD8C38 84E2517C
	s_add_u32 s62, 0x300, s60                                  // 000000004178: 803E3CFF 00000300
	s_cmp_lt_u32 s62, s61                                      // 000000004180: BF0A3D3E
	v_mfma_scale_f32_16x16x128_f8f6f4 a[60:63], v[124:127], v[44:47], a[60:63], v175, v170 op_sel_hi:[0,0,0] cbsz:4 blgp:4// 000000004184: D3AC7800 000355AF D3AD8C3C 84F2597C
	s_cselect_b32 s66, s66, 0                                  // 000000004194: 85428042
	buffer_load_dwordx4 v[72:75], v185, s[16:19], 0 offen      // 000000004198: E05C1000 800448B9
	v_mfma_scale_f32_16x16x128_f8f6f4 a[48:51], v[128:131], v[48:51], a[48:51], v175, v170 op_sel_hi:[0,0,0] cbsz:4 blgp:4// 0000000041A0: D3AC6000 180355AF D3AD8C30 84C26180
	s_cselect_b32 s68, s68, 0                                  // 0000000041B0: 85448044
	s_add_u32 s12, s12, s66                                    // 0000000041B4: 800C420C
	v_mfma_scale_f32_16x16x128_f8f6f4 a[52:55], v[128:131], v[52:55], a[52:55], v175, v170 op_sel_hi:[0,0,0] cbsz:4 blgp:4// 0000000041B8: D3AC7000 180355AF D3AD8C34 84D26980
	s_addc_u32 s13, 0, s13                                     // 0000000041C8: 820D0D80
	buffer_load_dwordx4 v[76:79], v186, s[16:19], 0 offen      // 0000000041CC: E05C1000 80044CBA
	v_mfma_scale_f32_16x16x128_f8f6f4 a[56:59], v[132:135], v[48:51], a[56:59], v175, v170 op_sel_hi:[0,0,0] cbsz:4 blgp:4// 0000000041D4: D3AC6800 180355AF D3AD8C38 84E26184
	s_sub_u32 s14, s14, s66                                    // 0000000041E4: 808E420E
	s_add_u32 s20, s20, s68                                    // 0000000041E8: 80144414
	v_mfma_scale_f32_16x16x128_f8f6f4 a[60:63], v[132:135], v[52:55], a[60:63], v175, v170 op_sel_hi:[0,0,0] cbsz:4 blgp:4// 0000000041EC: D3AC7800 180355AF D3AD8C3C 84F26984
	s_addc_u32 s21, 0, s21                                     // 0000000041FC: 82151580
	buffer_load_dwordx4 v[80:83], v185, s[16:19], 0 offen offset:1024// 000000004200: E05C1400 800450B9
	s_sub_u32 s22, s22, s68                                    // 000000004208: 80964416
	buffer_load_dwordx4 v[84:87], v186, s[16:19], 0 offen offset:1024// 00000000420C: E05C1400 800454BA
	buffer_load_dword v172, v197, s[24:27], 0 offen            // 000000004214: E0501000 8006ACC5
	s_waitcnt vmcnt(12)                                        // 00000000421C: BF8C0F7C
	v_mfma_scale_f32_16x16x128_f8f6f4 a[64:67], v[136:139], v[40:43], a[64:67], v176, v170 op_sel_hi:[0,0,0] cbsz:4 blgp:4// 000000004220: D3AC6000 000355B0 D3AD8C40 85025188
	v_mfma_scale_f32_16x16x128_f8f6f4 a[68:71], v[136:139], v[44:47], a[68:71], v176, v170 op_sel_hi:[0,0,0] cbsz:4 blgp:4// 000000004230: D3AC7000 000355B0 D3AD8C44 85125988
	buffer_load_dwordx4 v[88:91], v187, s[16:19], 0 offen      // 000000004240: E05C1000 800458BB
	v_mfma_scale_f32_16x16x128_f8f6f4 a[72:75], v[140:143], v[40:43], a[72:75], v176, v170 op_sel_hi:[0,0,0] cbsz:4 blgp:4// 000000004248: D3AC6800 000355B0 D3AD8C48 8522518C
	v_mfma_scale_f32_16x16x128_f8f6f4 a[76:79], v[140:143], v[44:47], a[76:79], v176, v170 op_sel_hi:[0,0,0] cbsz:4 blgp:4// 000000004258: D3AC7800 000355B0 D3AD8C4C 8532598C
	buffer_load_dwordx4 v[92:95], v188, s[16:19], 0 offen      // 000000004268: E05C1000 80045CBC
	v_mfma_scale_f32_16x16x128_f8f6f4 a[64:67], v[144:147], v[48:51], a[64:67], v176, v170 op_sel_hi:[0,0,0] cbsz:4 blgp:4// 000000004270: D3AC6000 180355B0 D3AD8C40 85026190
	v_mfma_scale_f32_16x16x128_f8f6f4 a[68:71], v[144:147], v[52:55], a[68:71], v176, v170 op_sel_hi:[0,0,0] cbsz:4 blgp:4// 000000004280: D3AC7000 180355B0 D3AD8C44 85126990
	buffer_load_dwordx4 v[96:99], v187, s[16:19], 0 offen offset:1024// 000000004290: E05C1400 800460BB
	v_mfma_scale_f32_16x16x128_f8f6f4 a[72:75], v[148:151], v[48:51], a[72:75], v176, v170 op_sel_hi:[0,0,0] cbsz:4 blgp:4// 000000004298: D3AC6800 180355B0 D3AD8C48 85226194
	v_mfma_scale_f32_16x16x128_f8f6f4 a[76:79], v[148:151], v[52:55], a[76:79], v176, v170 op_sel_hi:[0,0,0] cbsz:4 blgp:4// 0000000042A8: D3AC7800 180355B0 D3AD8C4C 85326994
	buffer_load_dwordx4 v[100:103], v188, s[16:19], 0 offen offset:1024// 0000000042B8: E05C1400 800464BC
	buffer_load_dword v173, v198, s[24:27], 0 offen            // 0000000042C0: E0501000 8006ADC6
	s_waitcnt vmcnt(10)                                        // 0000000042C8: BF8C0F7A
	s_barrier                                                  // 0000000042CC: BF8A0000
	v_mfma_scale_f32_16x16x128_f8f6f4 a[80:83], v[152:155], v[40:43], a[80:83], v177, v170 op_sel_hi:[0,0,0] cbsz:4 blgp:4// 0000000042D0: D3AC6000 000355B1 D3AD8C50 85425198
	s_addk_i32 s60, 0x100                                      // 0000000042E0: B73C0100
	ds_read_b128 v[8:11], v179                                 // 0000000042E4: D9FE0000 080000B3
	v_mfma_scale_f32_16x16x128_f8f6f4 a[84:87], v[152:155], v[44:47], a[84:87], v177, v170 op_sel_hi:[0,0,0] cbsz:4 blgp:4// 0000000042EC: D3AC7000 000355B1 D3AD8C54 85525998
	s_cmp_lt_i32 s60, s61                                      // 0000000042FC: BF043D3C
	buffer_load_dwordx4 v[104:107], v189, s[16:19], 0 offen    // 000000004300: E05C1000 800468BD
	v_mfma_scale_f32_16x16x128_f8f6f4 a[88:91], v[156:159], v[40:43], a[88:91], v177, v170 op_sel_hi:[0,0,0] cbsz:4 blgp:4// 000000004308: D3AC6800 000355B1 D3AD8C58 8562519C
	ds_read_b128 v[16:19], v179 offset:64                      // 000000004318: D9FE0040 100000B3
	v_mfma_scale_f32_16x16x128_f8f6f4 a[92:95], v[156:159], v[44:47], a[92:95], v177, v170 op_sel_hi:[0,0,0] cbsz:4 blgp:4// 000000004320: D3AC7800 000355B1 D3AD8C5C 8572599C
	buffer_load_dwordx4 v[108:111], v190, s[16:19], 0 offen    // 000000004330: E05C1000 80046CBE
	v_mfma_scale_f32_16x16x128_f8f6f4 a[80:83], v[160:163], v[48:51], a[80:83], v177, v170 op_sel_hi:[0,0,0] cbsz:4 blgp:4// 000000004338: D3AC6000 180355B1 D3AD8C50 854261A0
	ds_read_b128 v[12:15], v179 offset:512                     // 000000004348: D9FE0200 0C0000B3
	v_mfma_scale_f32_16x16x128_f8f6f4 a[84:87], v[160:163], v[52:55], a[84:87], v177, v170 op_sel_hi:[0,0,0] cbsz:4 blgp:4// 000000004350: D3AC7000 180355B1 D3AD8C54 855269A0
	buffer_load_dwordx4 v[112:115], v189, s[16:19], 0 offen offset:1024// 000000004360: E05C1400 800470BD
	v_mfma_scale_f32_16x16x128_f8f6f4 a[88:91], v[164:167], v[48:51], a[88:91], v177, v170 op_sel_hi:[0,0,0] cbsz:4 blgp:4// 000000004368: D3AC6800 180355B1 D3AD8C58 856261A4
	ds_read_b128 v[20:23], v179 offset:576                     // 000000004378: D9FE0240 140000B3
	v_mfma_scale_f32_16x16x128_f8f6f4 a[92:95], v[164:167], v[52:55], a[92:95], v177, v170 op_sel_hi:[0,0,0] cbsz:4 blgp:4// 000000004380: D3AC7800 180355B1 D3AD8C5C 857269A4
	buffer_load_dwordx4 v[116:119], v190, s[16:19], 0 offen offset:1024// 000000004390: E05C1400 800474BE
	ds_read_b32 v168, v184                                     // 000000004398: D86C0000 A80000B8
	buffer_load_dword v174, v199, s[24:27], 0 offen            // 0000000043A0: E0501000 8006AEC7
	s_cbranch_scc0 label_0BD1                                  // 0000000043A8: BF8405E6
	s_waitcnt vmcnt(10) lgkmcnt(5)                             // 0000000043AC: BF8C057A
	v_mfma_scale_f32_16x16x128_f8f6f4 a[0:3], v[72:75], v[56:59], a[0:3], v172, v171 op_sel_hi:[0,0,0] cbsz:4 blgp:4// 0000000043B0: D3AC6000 000357AC D3AD8C00 84027148
	v_mfma_scale_f32_16x16x128_f8f6f4 a[4:7], v[72:75], v[60:63], a[4:7], v172, v171 op_sel_hi:[0,0,0] cbsz:4 blgp:4// 0000000043C0: D3AC7000 000357AC D3AD8C04 84127948
	buffer_load_dwordx4 v[120:123], v191, s[16:19], 0 offen    // 0000000043D0: E05C1000 800478BF
	v_mfma_scale_f32_16x16x128_f8f6f4 a[8:11], v[76:79], v[56:59], a[8:11], v172, v171 op_sel_hi:[0,0,0] cbsz:4 blgp:4// 0000000043D8: D3AC6800 000357AC D3AD8C08 8422714C
	v_mfma_scale_f32_16x16x128_f8f6f4 a[12:15], v[76:79], v[60:63], a[12:15], v172, v171 op_sel_hi:[0,0,0] cbsz:4 blgp:4// 0000000043E8: D3AC7800 000357AC D3AD8C0C 8432794C
	buffer_load_dwordx4 v[124:127], v192, s[16:19], 0 offen    // 0000000043F8: E05C1000 80047CC0
	v_mfma_scale_f32_16x16x128_f8f6f4 a[0:3], v[80:83], v[64:67], a[0:3], v172, v171 op_sel_hi:[0,0,0] cbsz:4 blgp:4// 000000004400: D3AC6000 180357AC D3AD8C00 84028150
	v_mfma_scale_f32_16x16x128_f8f6f4 a[4:7], v[80:83], v[68:71], a[4:7], v172, v171 op_sel_hi:[0,0,0] cbsz:4 blgp:4// 000000004410: D3AC7000 180357AC D3AD8C04 84128950
	buffer_load_dwordx4 v[128:131], v191, s[16:19], 0 offen offset:1024// 000000004420: E05C1400 800480BF
	v_mfma_scale_f32_16x16x128_f8f6f4 a[8:11], v[84:87], v[64:67], a[8:11], v172, v171 op_sel_hi:[0,0,0] cbsz:4 blgp:4// 000000004428: D3AC6800 180357AC D3AD8C08 84228154
	v_mfma_scale_f32_16x16x128_f8f6f4 a[12:15], v[84:87], v[68:71], a[12:15], v172, v171 op_sel_hi:[0,0,0] cbsz:4 blgp:4// 000000004438: D3AC7800 180357AC D3AD8C0C 84328954
	buffer_load_dwordx4 v[132:135], v192, s[16:19], 0 offen offset:1024// 000000004448: E05C1400 800484C0
	buffer_load_dword v175, v200, s[24:27], 0 offen            // 000000004450: E0501000 8006AFC8
	s_waitcnt vmcnt(10)                                        // 000000004458: BF8C0F7A
	v_mfma_scale_f32_16x16x128_f8f6f4 a[16:19], v[88:91], v[56:59], a[16:19], v173, v171 op_sel_hi:[0,0,0] cbsz:4 blgp:4// 00000000445C: D3AC6000 000357AD D3AD8C10 84427158
	v_mfma_scale_f32_16x16x128_f8f6f4 a[20:23], v[88:91], v[60:63], a[20:23], v173, v171 op_sel_hi:[0,0,0] cbsz:4 blgp:4// 00000000446C: D3AC7000 000357AD D3AD8C14 84527958
	buffer_load_dwordx4 v[136:139], v193, s[16:19], 0 offen    // 00000000447C: E05C1000 800488C1
	v_mfma_scale_f32_16x16x128_f8f6f4 a[24:27], v[92:95], v[56:59], a[24:27], v173, v171 op_sel_hi:[0,0,0] cbsz:4 blgp:4// 000000004484: D3AC6800 000357AD D3AD8C18 8462715C
	v_mfma_scale_f32_16x16x128_f8f6f4 a[28:31], v[92:95], v[60:63], a[28:31], v173, v171 op_sel_hi:[0,0,0] cbsz:4 blgp:4// 000000004494: D3AC7800 000357AD D3AD8C1C 8472795C
	buffer_load_dwordx4 v[140:143], v194, s[16:19], 0 offen    // 0000000044A4: E05C1000 80048CC2
	v_mfma_scale_f32_16x16x128_f8f6f4 a[16:19], v[96:99], v[64:67], a[16:19], v173, v171 op_sel_hi:[0,0,0] cbsz:4 blgp:4// 0000000044AC: D3AC6000 180357AD D3AD8C10 84428160
	v_mfma_scale_f32_16x16x128_f8f6f4 a[20:23], v[96:99], v[68:71], a[20:23], v173, v171 op_sel_hi:[0,0,0] cbsz:4 blgp:4// 0000000044BC: D3AC7000 180357AD D3AD8C14 84528960
	buffer_load_dwordx4 v[144:147], v193, s[16:19], 0 offen offset:1024// 0000000044CC: E05C1400 800490C1
	v_mfma_scale_f32_16x16x128_f8f6f4 a[24:27], v[100:103], v[64:67], a[24:27], v173, v171 op_sel_hi:[0,0,0] cbsz:4 blgp:4// 0000000044D4: D3AC6800 180357AD D3AD8C18 84628164
	v_mfma_scale_f32_16x16x128_f8f6f4 a[28:31], v[100:103], v[68:71], a[28:31], v173, v171 op_sel_hi:[0,0,0] cbsz:4 blgp:4// 0000000044E4: D3AC7800 180357AD D3AD8C1C 84728964
	buffer_load_dwordx4 v[148:151], v194, s[16:19], 0 offen offset:1024// 0000000044F4: E05C1400 800494C2
	buffer_load_dword v176, v201, s[24:27], 0 offen            // 0000000044FC: E0501000 8006B0C9
	s_waitcnt vmcnt(10)                                        // 000000004504: BF8C0F7A
	v_mfma_scale_f32_16x16x128_f8f6f4 a[32:35], v[104:107], v[56:59], a[32:35], v174, v171 op_sel_hi:[0,0,0] cbsz:4 blgp:4// 000000004508: D3AC6000 000357AE D3AD8C20 84827168
	s_add_u32 s63, 0x100, s60                                  // 000000004518: 803F3CFF 00000100
	s_cmp_lt_u32 s63, s61                                      // 000000004520: BF0A3D3F
	v_mfma_scale_f32_16x16x128_f8f6f4 a[36:39], v[104:107], v[60:63], a[36:39], v174, v171 op_sel_hi:[0,0,0] cbsz:4 blgp:4// 000000004524: D3AC7000 000357AE D3AD8C24 84927968
	s_cselect_b32 s67, s67, 0                                  // 000000004534: 85438043
	buffer_load_dwordx4 v[152:155], v195, s[16:19], 0 offen    // 000000004538: E05C1000 800498C3
	v_mfma_scale_f32_16x16x128_f8f6f4 a[40:43], v[108:111], v[56:59], a[40:43], v174, v171 op_sel_hi:[0,0,0] cbsz:4 blgp:4// 000000004540: D3AC6800 000357AE D3AD8C28 84A2716C
	s_cselect_b32 s69, s69, 0                                  // 000000004550: 85458045
	v_mfma_scale_f32_16x16x128_f8f6f4 a[44:47], v[108:111], v[60:63], a[44:47], v174, v171 op_sel_hi:[0,0,0] cbsz:4 blgp:4// 000000004554: D3AC7800 000357AE D3AD8C2C 84B2796C
	buffer_load_dwordx4 v[156:159], v196, s[16:19], 0 offen    // 000000004564: E05C1000 80049CC4
	v_mfma_scale_f32_16x16x128_f8f6f4 a[32:35], v[112:115], v[64:67], a[32:35], v174, v171 op_sel_hi:[0,0,0] cbsz:4 blgp:4// 00000000456C: D3AC6000 180357AE D3AD8C20 84828170
	v_mfma_scale_f32_16x16x128_f8f6f4 a[36:39], v[112:115], v[68:71], a[36:39], v174, v171 op_sel_hi:[0,0,0] cbsz:4 blgp:4// 00000000457C: D3AC7000 180357AE D3AD8C24 84928970
	buffer_load_dwordx4 v[160:163], v195, s[16:19], 0 offen offset:1024// 00000000458C: E05C1400 8004A0C3
	v_mfma_scale_f32_16x16x128_f8f6f4 a[40:43], v[116:119], v[64:67], a[40:43], v174, v171 op_sel_hi:[0,0,0] cbsz:4 blgp:4// 000000004594: D3AC6800 180357AE D3AD8C28 84A28174
	v_mfma_scale_f32_16x16x128_f8f6f4 a[44:47], v[116:119], v[68:71], a[44:47], v174, v171 op_sel_hi:[0,0,0] cbsz:4 blgp:4// 0000000045A4: D3AC7800 180357AE D3AD8C2C 84B28974
	buffer_load_dwordx4 v[164:167], v196, s[16:19], 0 offen offset:1024// 0000000045B4: E05C1400 8004A4C4
	buffer_load_dword v177, v202, s[24:27], 0 offen            // 0000000045BC: E0501000 8006B1CA
	s_add_u32 s16, s16, s67                                    // 0000000045C4: 80104310
	s_addc_u32 s17, 0, s17                                     // 0000000045C8: 82111180
	s_sub_u32 s18, s18, s67                                    // 0000000045CC: 80924312
	s_add_u32 s24, s24, s69                                    // 0000000045D0: 80184518
	s_addc_u32 s25, 0, s25                                     // 0000000045D4: 82191980
	s_sub_u32 s26, s26, s69                                    // 0000000045D8: 809A451A
	s_add_u32 m0, 0x400, s65                                   // 0000000045DC: 807C41FF 00000400
	buffer_load_dword v183, s[20:23], 0 offen lds              // 0000000045E4: E0511000 800500B7
	s_waitcnt vmcnt(11)                                        // 0000000045EC: BF8C0F7B
	v_mfma_scale_f32_16x16x128_f8f6f4 a[48:51], v[120:123], v[56:59], a[48:51], v175, v171 op_sel_hi:[0,0,0] cbsz:4 blgp:4// 0000000045F0: D3AC6000 000357AF D3AD8C30 84C27178
	v_mfma_scale_f32_16x16x128_f8f6f4 a[52:55], v[120:123], v[60:63], a[52:55], v175, v171 op_sel_hi:[0,0,0] cbsz:4 blgp:4// 000000004600: D3AC7000 000357AF D3AD8C34 84D27978
	s_add_u32 m0, 0x1080, s64                                  // 000000004610: 807C40FF 00001080
	buffer_load_dwordx4 v178, s[12:15], 0 offen lds            // 000000004618: E05D1000 800300B2
	v_mfma_scale_f32_16x16x128_f8f6f4 a[56:59], v[124:127], v[56:59], a[56:59], v175, v171 op_sel_hi:[0,0,0] cbsz:4 blgp:4// 000000004620: D3AC6800 000357AF D3AD8C38 84E2717C
	s_add_u32 s62, 0x300, s60                                  // 000000004630: 803E3CFF 00000300
	s_cmp_lt_u32 s62, s61                                      // 000000004638: BF0A3D3E
	v_mfma_scale_f32_16x16x128_f8f6f4 a[60:63], v[124:127], v[60:63], a[60:63], v175, v171 op_sel_hi:[0,0,0] cbsz:4 blgp:4// 00000000463C: D3AC7800 000357AF D3AD8C3C 84F2797C
	s_cselect_b32 s66, s66, 0                                  // 00000000464C: 85428042
	buffer_load_dwordx4 v[72:75], v185, s[16:19], 0 offen      // 000000004650: E05C1000 800448B9
	v_mfma_scale_f32_16x16x128_f8f6f4 a[48:51], v[128:131], v[64:67], a[48:51], v175, v171 op_sel_hi:[0,0,0] cbsz:4 blgp:4// 000000004658: D3AC6000 180357AF D3AD8C30 84C28180
	s_cselect_b32 s68, s68, 0                                  // 000000004668: 85448044
	s_add_u32 s12, s12, s66                                    // 00000000466C: 800C420C
	v_mfma_scale_f32_16x16x128_f8f6f4 a[52:55], v[128:131], v[68:71], a[52:55], v175, v171 op_sel_hi:[0,0,0] cbsz:4 blgp:4// 000000004670: D3AC7000 180357AF D3AD8C34 84D28980
	s_addc_u32 s13, 0, s13                                     // 000000004680: 820D0D80
	buffer_load_dwordx4 v[76:79], v186, s[16:19], 0 offen      // 000000004684: E05C1000 80044CBA
	v_mfma_scale_f32_16x16x128_f8f6f4 a[56:59], v[132:135], v[64:67], a[56:59], v175, v171 op_sel_hi:[0,0,0] cbsz:4 blgp:4// 00000000468C: D3AC6800 180357AF D3AD8C38 84E28184
	s_sub_u32 s14, s14, s66                                    // 00000000469C: 808E420E
	s_add_u32 s20, s20, s68                                    // 0000000046A0: 80144414
	v_mfma_scale_f32_16x16x128_f8f6f4 a[60:63], v[132:135], v[68:71], a[60:63], v175, v171 op_sel_hi:[0,0,0] cbsz:4 blgp:4// 0000000046A4: D3AC7800 180357AF D3AD8C3C 84F28984
	s_addc_u32 s21, 0, s21                                     // 0000000046B4: 82151580
	buffer_load_dwordx4 v[80:83], v185, s[16:19], 0 offen offset:1024// 0000000046B8: E05C1400 800450B9
	s_sub_u32 s22, s22, s68                                    // 0000000046C0: 80964416
	buffer_load_dwordx4 v[84:87], v186, s[16:19], 0 offen offset:1024// 0000000046C4: E05C1400 800454BA
	buffer_load_dword v172, v197, s[24:27], 0 offen            // 0000000046CC: E0501000 8006ACC5
	s_waitcnt vmcnt(12)                                        // 0000000046D4: BF8C0F7C
	v_mfma_scale_f32_16x16x128_f8f6f4 a[64:67], v[136:139], v[56:59], a[64:67], v176, v171 op_sel_hi:[0,0,0] cbsz:4 blgp:4// 0000000046D8: D3AC6000 000357B0 D3AD8C40 85027188
	v_mfma_scale_f32_16x16x128_f8f6f4 a[68:71], v[136:139], v[60:63], a[68:71], v176, v171 op_sel_hi:[0,0,0] cbsz:4 blgp:4// 0000000046E8: D3AC7000 000357B0 D3AD8C44 85127988
	buffer_load_dwordx4 v[88:91], v187, s[16:19], 0 offen      // 0000000046F8: E05C1000 800458BB
	v_mfma_scale_f32_16x16x128_f8f6f4 a[72:75], v[140:143], v[56:59], a[72:75], v176, v171 op_sel_hi:[0,0,0] cbsz:4 blgp:4// 000000004700: D3AC6800 000357B0 D3AD8C48 8522718C
	v_mfma_scale_f32_16x16x128_f8f6f4 a[76:79], v[140:143], v[60:63], a[76:79], v176, v171 op_sel_hi:[0,0,0] cbsz:4 blgp:4// 000000004710: D3AC7800 000357B0 D3AD8C4C 8532798C
	buffer_load_dwordx4 v[92:95], v188, s[16:19], 0 offen      // 000000004720: E05C1000 80045CBC
	v_mfma_scale_f32_16x16x128_f8f6f4 a[64:67], v[144:147], v[64:67], a[64:67], v176, v171 op_sel_hi:[0,0,0] cbsz:4 blgp:4// 000000004728: D3AC6000 180357B0 D3AD8C40 85028190
	v_mfma_scale_f32_16x16x128_f8f6f4 a[68:71], v[144:147], v[68:71], a[68:71], v176, v171 op_sel_hi:[0,0,0] cbsz:4 blgp:4// 000000004738: D3AC7000 180357B0 D3AD8C44 85128990
	buffer_load_dwordx4 v[96:99], v187, s[16:19], 0 offen offset:1024// 000000004748: E05C1400 800460BB
	v_mfma_scale_f32_16x16x128_f8f6f4 a[72:75], v[148:151], v[64:67], a[72:75], v176, v171 op_sel_hi:[0,0,0] cbsz:4 blgp:4// 000000004750: D3AC6800 180357B0 D3AD8C48 85228194
	v_mfma_scale_f32_16x16x128_f8f6f4 a[76:79], v[148:151], v[68:71], a[76:79], v176, v171 op_sel_hi:[0,0,0] cbsz:4 blgp:4// 000000004760: D3AC7800 180357B0 D3AD8C4C 85328994
	buffer_load_dwordx4 v[100:103], v188, s[16:19], 0 offen offset:1024// 000000004770: E05C1400 800464BC
	buffer_load_dword v173, v198, s[24:27], 0 offen            // 000000004778: E0501000 8006ADC6
	s_waitcnt vmcnt(10)                                        // 000000004780: BF8C0F7A
	s_barrier                                                  // 000000004784: BF8A0000
	v_mfma_scale_f32_16x16x128_f8f6f4 a[80:83], v[152:155], v[56:59], a[80:83], v177, v171 op_sel_hi:[0,0,0] cbsz:4 blgp:4// 000000004788: D3AC6000 000357B1 D3AD8C50 85427198
	s_addk_i32 s60, 0x100                                      // 000000004798: B73C0100
	ds_read_b128 v[24:27], v180                                // 00000000479C: D9FE0000 180000B4
	v_mfma_scale_f32_16x16x128_f8f6f4 a[84:87], v[152:155], v[60:63], a[84:87], v177, v171 op_sel_hi:[0,0,0] cbsz:4 blgp:4// 0000000047A4: D3AC7000 000357B1 D3AD8C54 85527998
	s_cmp_lt_i32 s60, s61                                      // 0000000047B4: BF043D3C
	buffer_load_dwordx4 v[104:107], v189, s[16:19], 0 offen    // 0000000047B8: E05C1000 800468BD
	v_mfma_scale_f32_16x16x128_f8f6f4 a[88:91], v[156:159], v[56:59], a[88:91], v177, v171 op_sel_hi:[0,0,0] cbsz:4 blgp:4// 0000000047C0: D3AC6800 000357B1 D3AD8C58 8562719C
	ds_read_b128 v[32:35], v180 offset:64                      // 0000000047D0: D9FE0040 200000B4
	v_mfma_scale_f32_16x16x128_f8f6f4 a[92:95], v[156:159], v[60:63], a[92:95], v177, v171 op_sel_hi:[0,0,0] cbsz:4 blgp:4// 0000000047D8: D3AC7800 000357B1 D3AD8C5C 8572799C
	buffer_load_dwordx4 v[108:111], v190, s[16:19], 0 offen    // 0000000047E8: E05C1000 80046CBE
	v_mfma_scale_f32_16x16x128_f8f6f4 a[80:83], v[160:163], v[64:67], a[80:83], v177, v171 op_sel_hi:[0,0,0] cbsz:4 blgp:4// 0000000047F0: D3AC6000 180357B1 D3AD8C50 854281A0
	ds_read_b128 v[28:31], v180 offset:512                     // 000000004800: D9FE0200 1C0000B4
	v_mfma_scale_f32_16x16x128_f8f6f4 a[84:87], v[160:163], v[68:71], a[84:87], v177, v171 op_sel_hi:[0,0,0] cbsz:4 blgp:4// 000000004808: D3AC7000 180357B1 D3AD8C54 855289A0
	buffer_load_dwordx4 v[112:115], v189, s[16:19], 0 offen offset:1024// 000000004818: E05C1400 800470BD
	v_mfma_scale_f32_16x16x128_f8f6f4 a[88:91], v[164:167], v[64:67], a[88:91], v177, v171 op_sel_hi:[0,0,0] cbsz:4 blgp:4// 000000004820: D3AC6800 180357B1 D3AD8C58 856281A4
	ds_read_b128 v[36:39], v180 offset:576                     // 000000004830: D9FE0240 240000B4
	v_mfma_scale_f32_16x16x128_f8f6f4 a[92:95], v[164:167], v[68:71], a[92:95], v177, v171 op_sel_hi:[0,0,0] cbsz:4 blgp:4// 000000004838: D3AC7800 180357B1 D3AD8C5C 857289A4
	buffer_load_dwordx4 v[116:119], v190, s[16:19], 0 offen offset:1024// 000000004848: E05C1400 800474BE
	ds_read_b32 v169, v184 offset:1024                         // 000000004850: D86C0400 A90000B8
	buffer_load_dword v174, v199, s[24:27], 0 offen            // 000000004858: E0501000 8006AEC7
	s_cbranch_scc0 label_0BD1                                  // 000000004860: BF8404B8
	s_branch label_0263                                        // 000000004864: BF82FB49

0000000000004868 <label_071A>:
	s_waitcnt vmcnt(10) lgkmcnt(5)                             // 000000004868: BF8C057A
	v_mfma_scale_f32_16x16x128_f8f6f4 a[0:3], v[72:75], v[8:11], a[0:3], v172, v168 op_sel_hi:[0,0,0] cbsz:4 blgp:4// 00000000486C: D3AC6000 000351AC D3AD8C00 84021148
	buffer_load_dwordx4 v[120:123], v191, s[16:19], 0 offen    // 00000000487C: E05C1000 800478BF
	v_mfma_scale_f32_16x16x128_f8f6f4 a[4:7], v[72:75], v[12:15], a[4:7], v172, v168 op_sel_hi:[0,0,0] cbsz:4 blgp:4// 000000004884: D3AC7000 000351AC D3AD8C04 84121948
	v_mfma_scale_f32_16x16x128_f8f6f4 a[8:11], v[76:79], v[8:11], a[8:11], v172, v168 op_sel_hi:[0,0,0] cbsz:4 blgp:4// 000000004894: D3AC6800 000351AC D3AD8C08 8422114C
	buffer_load_dwordx4 v[124:127], v192, s[16:19], 0 offen    // 0000000048A4: E05C1000 80047CC0
	v_mfma_scale_f32_16x16x128_f8f6f4 a[12:15], v[76:79], v[12:15], a[12:15], v172, v168 op_sel_hi:[0,0,0] cbsz:4 blgp:4// 0000000048AC: D3AC7800 000351AC D3AD8C0C 8432194C
	v_mfma_scale_f32_16x16x128_f8f6f4 a[0:3], v[80:83], v[16:19], a[0:3], v172, v168 op_sel_hi:[0,0,0] cbsz:4 blgp:4// 0000000048BC: D3AC6000 180351AC D3AD8C00 84022150
	buffer_load_dwordx4 v[128:131], v191, s[16:19], 0 offen offset:1024// 0000000048CC: E05C1400 800480BF
	v_mfma_scale_f32_16x16x128_f8f6f4 a[4:7], v[80:83], v[20:23], a[4:7], v172, v168 op_sel_hi:[0,0,0] cbsz:4 blgp:4// 0000000048D4: D3AC7000 180351AC D3AD8C04 84122950
	v_mfma_scale_f32_16x16x128_f8f6f4 a[8:11], v[84:87], v[16:19], a[8:11], v172, v168 op_sel_hi:[0,0,0] cbsz:4 blgp:4// 0000000048E4: D3AC6800 180351AC D3AD8C08 84222154
	buffer_load_dwordx4 v[132:135], v192, s[16:19], 0 offen offset:1024// 0000000048F4: E05C1400 800484C0
	v_mfma_scale_f32_16x16x128_f8f6f4 a[12:15], v[84:87], v[20:23], a[12:15], v172, v168 op_sel_hi:[0,0,0] cbsz:4 blgp:4// 0000000048FC: D3AC7800 180351AC D3AD8C0C 84322954
	buffer_load_dword v175, v200, s[24:27], 0 offen            // 00000000490C: E0501000 8006AFC8
	s_waitcnt vmcnt(10)                                        // 000000004914: BF8C0F7A
	v_mfma_scale_f32_16x16x128_f8f6f4 a[16:19], v[88:91], v[8:11], a[16:19], v173, v168 op_sel_hi:[0,0,0] cbsz:4 blgp:4// 000000004918: D3AC6000 000351AD D3AD8C10 84421158
	buffer_load_dwordx4 v[136:139], v193, s[16:19], 0 offen    // 000000004928: E05C1000 800488C1
	v_mfma_scale_f32_16x16x128_f8f6f4 a[20:23], v[88:91], v[12:15], a[20:23], v173, v168 op_sel_hi:[0,0,0] cbsz:4 blgp:4// 000000004930: D3AC7000 000351AD D3AD8C14 84521958
	v_mfma_scale_f32_16x16x128_f8f6f4 a[24:27], v[92:95], v[8:11], a[24:27], v173, v168 op_sel_hi:[0,0,0] cbsz:4 blgp:4// 000000004940: D3AC6800 000351AD D3AD8C18 8462115C
	buffer_load_dwordx4 v[140:143], v194, s[16:19], 0 offen    // 000000004950: E05C1000 80048CC2
	v_mfma_scale_f32_16x16x128_f8f6f4 a[28:31], v[92:95], v[12:15], a[28:31], v173, v168 op_sel_hi:[0,0,0] cbsz:4 blgp:4// 000000004958: D3AC7800 000351AD D3AD8C1C 8472195C
	v_mfma_scale_f32_16x16x128_f8f6f4 a[16:19], v[96:99], v[16:19], a[16:19], v173, v168 op_sel_hi:[0,0,0] cbsz:4 blgp:4// 000000004968: D3AC6000 180351AD D3AD8C10 84422160
	buffer_load_dwordx4 v[144:147], v193, s[16:19], 0 offen offset:1024// 000000004978: E05C1400 800490C1
	v_mfma_scale_f32_16x16x128_f8f6f4 a[20:23], v[96:99], v[20:23], a[20:23], v173, v168 op_sel_hi:[0,0,0] cbsz:4 blgp:4// 000000004980: D3AC7000 180351AD D3AD8C14 84522960
	v_mfma_scale_f32_16x16x128_f8f6f4 a[24:27], v[100:103], v[16:19], a[24:27], v173, v168 op_sel_hi:[0,0,0] cbsz:4 blgp:4// 000000004990: D3AC6800 180351AD D3AD8C18 84622164
	buffer_load_dwordx4 v[148:151], v194, s[16:19], 0 offen offset:1024// 0000000049A0: E05C1400 800494C2
	v_mfma_scale_f32_16x16x128_f8f6f4 a[28:31], v[100:103], v[20:23], a[28:31], v173, v168 op_sel_hi:[0,0,0] cbsz:4 blgp:4// 0000000049A8: D3AC7800 180351AD D3AD8C1C 84722964
	buffer_load_dword v176, v201, s[24:27], 0 offen            // 0000000049B8: E0501000 8006B0C9
	s_waitcnt vmcnt(10)                                        // 0000000049C0: BF8C0F7A
	v_mfma_scale_f32_16x16x128_f8f6f4 a[32:35], v[104:107], v[8:11], a[32:35], v174, v168 op_sel_hi:[0,0,0] cbsz:4 blgp:4// 0000000049C4: D3AC6000 000351AE D3AD8C20 84821168
	s_add_u32 s63, 0x100, s60                                  // 0000000049D4: 803F3CFF 00000100
	buffer_load_dwordx4 v[152:155], v195, s[16:19], 0 offen    // 0000000049DC: E05C1000 800498C3
	v_mfma_scale_f32_16x16x128_f8f6f4 a[36:39], v[104:107], v[12:15], a[36:39], v174, v168 op_sel_hi:[0,0,0] cbsz:4 blgp:4// 0000000049E4: D3AC7000 000351AE D3AD8C24 84921968
	s_cmp_lt_u32 s63, s61                                      // 0000000049F4: BF0A3D3F
	s_cselect_b32 s67, s67, 0                                  // 0000000049F8: 85438043
	v_mfma_scale_f32_16x16x128_f8f6f4 a[40:43], v[108:111], v[8:11], a[40:43], v174, v168 op_sel_hi:[0,0,0] cbsz:4 blgp:4// 0000000049FC: D3AC6800 000351AE D3AD8C28 84A2116C
	s_cselect_b32 s69, s69, 0                                  // 000000004A0C: 85458045
	buffer_load_dwordx4 v[156:159], v196, s[16:19], 0 offen    // 000000004A10: E05C1000 80049CC4
	v_mfma_scale_f32_16x16x128_f8f6f4 a[44:47], v[108:111], v[12:15], a[44:47], v174, v168 op_sel_hi:[0,0,0] cbsz:4 blgp:4// 000000004A18: D3AC7800 000351AE D3AD8C2C 84B2196C
	v_mfma_scale_f32_16x16x128_f8f6f4 a[32:35], v[112:115], v[16:19], a[32:35], v174, v168 op_sel_hi:[0,0,0] cbsz:4 blgp:4// 000000004A28: D3AC6000 180351AE D3AD8C20 84822170
	buffer_load_dwordx4 v[160:163], v195, s[16:19], 0 offen offset:1024// 000000004A38: E05C1400 8004A0C3
	v_mfma_scale_f32_16x16x128_f8f6f4 a[36:39], v[112:115], v[20:23], a[36:39], v174, v168 op_sel_hi:[0,0,0] cbsz:4 blgp:4// 000000004A40: D3AC7000 180351AE D3AD8C24 84922970
	v_mfma_scale_f32_16x16x128_f8f6f4 a[40:43], v[116:119], v[16:19], a[40:43], v174, v168 op_sel_hi:[0,0,0] cbsz:4 blgp:4// 000000004A50: D3AC6800 180351AE D3AD8C28 84A22174
	buffer_load_dwordx4 v[164:167], v196, s[16:19], 0 offen offset:1024// 000000004A60: E05C1400 8004A4C4
	v_mfma_scale_f32_16x16x128_f8f6f4 a[44:47], v[116:119], v[20:23], a[44:47], v174, v168 op_sel_hi:[0,0,0] cbsz:4 blgp:4// 000000004A68: D3AC7800 180351AE D3AD8C2C 84B22974
	buffer_load_dword v177, v202, s[24:27], 0 offen            // 000000004A78: E0501000 8006B1CA
	s_add_u32 s16, s16, s67                                    // 000000004A80: 80104310
	s_addc_u32 s17, 0, s17                                     // 000000004A84: 82111180
	s_sub_u32 s18, s18, s67                                    // 000000004A88: 80924312
	s_add_u32 s24, s24, s69                                    // 000000004A8C: 80184518
	s_addc_u32 s25, 0, s25                                     // 000000004A90: 82191980
	s_sub_u32 s26, s26, s69                                    // 000000004A94: 809A451A
	s_add_u32 m0, 0x800, s65                                   // 000000004A98: 807C41FF 00000800
	buffer_load_dword v183, s[20:23], 0 offen lds              // 000000004AA0: E0511000 800500B7
	s_waitcnt vmcnt(11)                                        // 000000004AA8: BF8C0F7B
	v_mfma_scale_f32_16x16x128_f8f6f4 a[48:51], v[120:123], v[8:11], a[48:51], v175, v168 op_sel_hi:[0,0,0] cbsz:4 blgp:4// 000000004AAC: D3AC6000 000351AF D3AD8C30 84C21178
	s_add_u32 m0, 0x2100, s64                                  // 000000004ABC: 807C40FF 00002100
	buffer_load_dwordx4 v178, s[12:15], 0 offen lds            // 000000004AC4: E05D1000 800300B2
	v_mfma_scale_f32_16x16x128_f8f6f4 a[52:55], v[120:123], v[12:15], a[52:55], v175, v168 op_sel_hi:[0,0,0] cbsz:4 blgp:4// 000000004ACC: D3AC7000 000351AF D3AD8C34 84D21978
	s_add_u32 s62, 0x300, s60                                  // 000000004ADC: 803E3CFF 00000300
	s_cmp_lt_u32 s62, s61                                      // 000000004AE4: BF0A3D3E
	v_mfma_scale_f32_16x16x128_f8f6f4 a[56:59], v[124:127], v[8:11], a[56:59], v175, v168 op_sel_hi:[0,0,0] cbsz:4 blgp:4// 000000004AE8: D3AC6800 000351AF D3AD8C38 84E2117C
	s_cselect_b32 s66, s66, 0                                  // 000000004AF8: 85428042
	buffer_load_dwordx4 v[72:75], v185, s[16:19], 0 offen      // 000000004AFC: E05C1000 800448B9
	v_mfma_scale_f32_16x16x128_f8f6f4 a[60:63], v[124:127], v[12:15], a[60:63], v175, v168 op_sel_hi:[0,0,0] cbsz:4 blgp:4// 000000004B04: D3AC7800 000351AF D3AD8C3C 84F2197C
	s_cselect_b32 s68, s68, 0                                  // 000000004B14: 85448044
	s_add_u32 s12, s12, s66                                    // 000000004B18: 800C420C
	v_mfma_scale_f32_16x16x128_f8f6f4 a[48:51], v[128:131], v[16:19], a[48:51], v175, v168 op_sel_hi:[0,0,0] cbsz:4 blgp:4// 000000004B1C: D3AC6000 180351AF D3AD8C30 84C22180
	s_addc_u32 s13, 0, s13                                     // 000000004B2C: 820D0D80
	buffer_load_dwordx4 v[76:79], v186, s[16:19], 0 offen      // 000000004B30: E05C1000 80044CBA
	v_mfma_scale_f32_16x16x128_f8f6f4 a[52:55], v[128:131], v[20:23], a[52:55], v175, v168 op_sel_hi:[0,0,0] cbsz:4 blgp:4// 000000004B38: D3AC7000 180351AF D3AD8C34 84D22980
	s_sub_u32 s14, s14, s66                                    // 000000004B48: 808E420E
	s_add_u32 s20, s20, s68                                    // 000000004B4C: 80144414
	v_mfma_scale_f32_16x16x128_f8f6f4 a[56:59], v[132:135], v[16:19], a[56:59], v175, v168 op_sel_hi:[0,0,0] cbsz:4 blgp:4// 000000004B50: D3AC6800 180351AF D3AD8C38 84E22184
	s_addc_u32 s21, 0, s21                                     // 000000004B60: 82151580
	buffer_load_dwordx4 v[80:83], v185, s[16:19], 0 offen offset:1024// 000000004B64: E05C1400 800450B9
	v_mfma_scale_f32_16x16x128_f8f6f4 a[60:63], v[132:135], v[20:23], a[60:63], v175, v168 op_sel_hi:[0,0,0] cbsz:4 blgp:4// 000000004B6C: D3AC7800 180351AF D3AD8C3C 84F22984
	s_sub_u32 s22, s22, s68                                    // 000000004B7C: 80964416
	buffer_load_dwordx4 v[84:87], v186, s[16:19], 0 offen offset:1024// 000000004B80: E05C1400 800454BA
	buffer_load_dword v172, v197, s[24:27], 0 offen            // 000000004B88: E0501000 8006ACC5
	s_waitcnt vmcnt(12)                                        // 000000004B90: BF8C0F7C
	v_mfma_scale_f32_16x16x128_f8f6f4 a[64:67], v[136:139], v[8:11], a[64:67], v176, v168 op_sel_hi:[0,0,0] cbsz:4 blgp:4// 000000004B94: D3AC6000 000351B0 D3AD8C40 85021188
	buffer_load_dwordx4 v[88:91], v187, s[16:19], 0 offen      // 000000004BA4: E05C1000 800458BB
	v_mfma_scale_f32_16x16x128_f8f6f4 a[68:71], v[136:139], v[12:15], a[68:71], v176, v168 op_sel_hi:[0,0,0] cbsz:4 blgp:4// 000000004BAC: D3AC5000 000351B0 D3AD8C44 85121988
	v_mfma_scale_f32_16x16x128_f8f6f4 a[72:75], v[140:143], v[8:11], a[72:75], v176, v168 op_sel_hi:[0,0,0] cbsz:4 blgp:4// 000000004BBC: D3AC2800 000351B0 D3AD8C48 8522118C
	buffer_load_dwordx4 v[92:95], v188, s[16:19], 0 offen      // 000000004BCC: E05C1000 80045CBC
	v_mfma_scale_f32_16x16x128_f8f6f4 a[76:79], v[140:143], v[12:15], a[76:79], v176, v168 op_sel_hi:[0,0,0] cbsz:4 blgp:4// 000000004BD4: D3AC7800 000351B0 D3AD8C4C 8532198C
	v_mfma_scale_f32_16x16x128_f8f6f4 a[64:67], v[144:147], v[16:19], a[64:67], v176, v168 op_sel_hi:[0,0,0] cbsz:4 blgp:4// 000000004BE4: D3AC6000 180351B0 D3AD8C40 85022190
	buffer_load_dwordx4 v[96:99], v187, s[16:19], 0 offen offset:1024// 000000004BF4: E05C1400 800460BB
	v_mfma_scale_f32_16x16x128_f8f6f4 a[68:71], v[144:147], v[20:23], a[68:71], v176, v168 op_sel_hi:[0,0,0] cbsz:4 blgp:4// 000000004BFC: D3AC7000 180351B0 D3AD8C44 85122990
	v_mfma_scale_f32_16x16x128_f8f6f4 a[72:75], v[148:151], v[16:19], a[72:75], v176, v168 op_sel_hi:[0,0,0] cbsz:4 blgp:4// 000000004C0C: D3AC0800 180351B0 D3AD8C48 85222194
	buffer_load_dwordx4 v[100:103], v188, s[16:19], 0 offen offset:1024// 000000004C1C: E05C1400 800464BC
	v_mfma_scale_f32_16x16x128_f8f6f4 a[76:79], v[148:151], v[20:23], a[76:79], v176, v168 op_sel_hi:[0,0,0] cbsz:4 blgp:4// 000000004C24: D3AC7800 180351B0 D3AD8C4C 85322994
	buffer_load_dword v173, v198, s[24:27], 0 offen            // 000000004C34: E0501000 8006ADC6
	s_waitcnt vmcnt(10)                                        // 000000004C3C: BF8C0F7A
	s_barrier                                                  // 000000004C40: BF8A0000
	v_mfma_scale_f32_16x16x128_f8f6f4 a[80:83], v[152:155], v[8:11], a[80:83], v177, v168 op_sel_hi:[0,0,0] cbsz:4 blgp:4// 000000004C44: D3AC6000 000351B1 D3AD8C50 85421198
	s_addk_i32 s60, 0x100                                      // 000000004C54: B73C0100
	buffer_load_dwordx4 v[104:107], v189, s[16:19], 0 offen    // 000000004C58: E05C1000 800468BD
	v_mfma_scale_f32_16x16x128_f8f6f4 a[84:87], v[152:155], v[12:15], a[84:87], v177, v168 op_sel_hi:[0,0,0] cbsz:4 blgp:4// 000000004C60: D3AC7000 000351B1 D3AD8C54 85521998
	s_cmp_lt_i32 s60, s61                                      // 000000004C70: BF043D3C
	ds_read_b128 v[40:43], v181                                // 000000004C74: D9FE0000 280000B5
	v_mfma_scale_f32_16x16x128_f8f6f4 a[88:91], v[156:159], v[8:11], a[88:91], v177, v168 op_sel_hi:[0,0,0] cbsz:4 blgp:4// 000000004C7C: D3AC6800 000351B1 D3AD8C58 8562119C
	buffer_load_dwordx4 v[108:111], v190, s[16:19], 0 offen    // 000000004C8C: E05C1000 80046CBE
	v_mfma_scale_f32_16x16x128_f8f6f4 a[92:95], v[156:159], v[12:15], a[92:95], v177, v168 op_sel_hi:[0,0,0] cbsz:4 blgp:4// 000000004C94: D3AC7800 000351B1 D3AD8C5C 8572199C
	ds_read_b128 v[48:51], v181 offset:64                      // 000000004CA4: D9FE0040 300000B5
	v_mfma_scale_f32_16x16x128_f8f6f4 a[80:83], v[160:163], v[16:19], a[80:83], v177, v168 op_sel_hi:[0,0,0] cbsz:4 blgp:4// 000000004CAC: D3AC6000 180351B1 D3AD8C50 854221A0
	buffer_load_dwordx4 v[112:115], v189, s[16:19], 0 offen offset:1024// 000000004CBC: E05C1400 800470BD
	v_mfma_scale_f32_16x16x128_f8f6f4 a[84:87], v[160:163], v[20:23], a[84:87], v177, v168 op_sel_hi:[0,0,0] cbsz:4 blgp:4// 000000004CC4: D3AC7000 180351B1 D3AD8C54 855229A0
	ds_read_b128 v[44:47], v181 offset:512                     // 000000004CD4: D9FE0200 2C0000B5
	v_mfma_scale_f32_16x16x128_f8f6f4 a[88:91], v[164:167], v[16:19], a[88:91], v177, v168 op_sel_hi:[0,0,0] cbsz:4 blgp:4// 000000004CDC: D3AC6800 180351B1 D3AD8C58 856221A4
	buffer_load_dwordx4 v[116:119], v190, s[16:19], 0 offen offset:1024// 000000004CEC: E05C1400 800474BE
	v_mfma_scale_f32_16x16x128_f8f6f4 a[92:95], v[164:167], v[20:23], a[92:95], v177, v168 op_sel_hi:[0,0,0] cbsz:4 blgp:4// 000000004CF4: D3AC7800 180351B1 D3AD8C5C 857229A4
	ds_read_b128 v[52:55], v181 offset:576                     // 000000004D04: D9FE0240 340000B5
	ds_read_b32 v170, v184 offset:2048                         // 000000004D0C: D86C0800 AA0000B8
	buffer_load_dword v174, v199, s[24:27], 0 offen            // 000000004D14: E0501000 8006AEC7
	s_cbranch_scc0 label_0BD1                                  // 000000004D1C: BF840389
	s_waitcnt vmcnt(10) lgkmcnt(5)                             // 000000004D20: BF8C057A
	v_mfma_scale_f32_16x16x128_f8f6f4 a[0:3], v[72:75], v[24:27], a[0:3], v172, v169 op_sel_hi:[0,0,0] cbsz:4 blgp:4// 000000004D24: D3AC6000 000353AC D3AD8C00 84023148
	buffer_load_dwordx4 v[120:123], v191, s[16:19], 0 offen    // 000000004D34: E05C1000 800478BF
	v_mfma_scale_f32_16x16x128_f8f6f4 a[4:7], v[72:75], v[28:31], a[4:7], v172, v169 op_sel_hi:[0,0,0] cbsz:4 blgp:4// 000000004D3C: D3AC7000 000353AC D3AD8C04 84123948
	v_mfma_scale_f32_16x16x128_f8f6f4 a[8:11], v[76:79], v[24:27], a[8:11], v172, v169 op_sel_hi:[0,0,0] cbsz:4 blgp:4// 000000004D4C: D3AC6800 000353AC D3AD8C08 8422314C
	buffer_load_dwordx4 v[124:127], v192, s[16:19], 0 offen    // 000000004D5C: E05C1000 80047CC0
	v_mfma_scale_f32_16x16x128_f8f6f4 a[12:15], v[76:79], v[28:31], a[12:15], v172, v169 op_sel_hi:[0,0,0] cbsz:4 blgp:4// 000000004D64: D3AC7800 000353AC D3AD8C0C 8432394C
	v_mfma_scale_f32_16x16x128_f8f6f4 a[0:3], v[80:83], v[32:35], a[0:3], v172, v169 op_sel_hi:[0,0,0] cbsz:4 blgp:4// 000000004D74: D3AC6000 180353AC D3AD8C00 84024150
	buffer_load_dwordx4 v[128:131], v191, s[16:19], 0 offen offset:1024// 000000004D84: E05C1400 800480BF
	v_mfma_scale_f32_16x16x128_f8f6f4 a[4:7], v[80:83], v[36:39], a[4:7], v172, v169 op_sel_hi:[0,0,0] cbsz:4 blgp:4// 000000004D8C: D3AC7000 180353AC D3AD8C04 84124950
	v_mfma_scale_f32_16x16x128_f8f6f4 a[8:11], v[84:87], v[32:35], a[8:11], v172, v169 op_sel_hi:[0,0,0] cbsz:4 blgp:4// 000000004D9C: D3AC6800 180353AC D3AD8C08 84224154
	buffer_load_dwordx4 v[132:135], v192, s[16:19], 0 offen offset:1024// 000000004DAC: E05C1400 800484C0
	v_mfma_scale_f32_16x16x128_f8f6f4 a[12:15], v[84:87], v[36:39], a[12:15], v172, v169 op_sel_hi:[0,0,0] cbsz:4 blgp:4// 000000004DB4: D3AC7800 180353AC D3AD8C0C 84324954
	buffer_load_dword v175, v200, s[24:27], 0 offen            // 000000004DC4: E0501000 8006AFC8
	s_waitcnt vmcnt(10)                                        // 000000004DCC: BF8C0F7A
	v_mfma_scale_f32_16x16x128_f8f6f4 a[16:19], v[88:91], v[24:27], a[16:19], v173, v169 op_sel_hi:[0,0,0] cbsz:4 blgp:4// 000000004DD0: D3AC6000 000353AD D3AD8C10 84423158
	buffer_load_dwordx4 v[136:139], v193, s[16:19], 0 offen    // 000000004DE0: E05C1000 800488C1
	v_mfma_scale_f32_16x16x128_f8f6f4 a[20:23], v[88:91], v[28:31], a[20:23], v173, v169 op_sel_hi:[0,0,0] cbsz:4 blgp:4// 000000004DE8: D3AC7000 000353AD D3AD8C14 84523958
	v_mfma_scale_f32_16x16x128_f8f6f4 a[24:27], v[92:95], v[24:27], a[24:27], v173, v169 op_sel_hi:[0,0,0] cbsz:4 blgp:4// 000000004DF8: D3AC6800 000353AD D3AD8C18 8462315C
	buffer_load_dwordx4 v[140:143], v194, s[16:19], 0 offen    // 000000004E08: E05C1000 80048CC2
	v_mfma_scale_f32_16x16x128_f8f6f4 a[28:31], v[92:95], v[28:31], a[28:31], v173, v169 op_sel_hi:[0,0,0] cbsz:4 blgp:4// 000000004E10: D3AC7800 000353AD D3AD8C1C 8472395C
	v_mfma_scale_f32_16x16x128_f8f6f4 a[16:19], v[96:99], v[32:35], a[16:19], v173, v169 op_sel_hi:[0,0,0] cbsz:4 blgp:4// 000000004E20: D3AC6000 180353AD D3AD8C10 84424160
	buffer_load_dwordx4 v[144:147], v193, s[16:19], 0 offen offset:1024// 000000004E30: E05C1400 800490C1
	v_mfma_scale_f32_16x16x128_f8f6f4 a[20:23], v[96:99], v[36:39], a[20:23], v173, v169 op_sel_hi:[0,0,0] cbsz:4 blgp:4// 000000004E38: D3AC7000 180353AD D3AD8C14 84524960
	v_mfma_scale_f32_16x16x128_f8f6f4 a[24:27], v[100:103], v[32:35], a[24:27], v173, v169 op_sel_hi:[0,0,0] cbsz:4 blgp:4// 000000004E48: D3AC6800 180353AD D3AD8C18 84624164
	buffer_load_dwordx4 v[148:151], v194, s[16:19], 0 offen offset:1024// 000000004E58: E05C1400 800494C2
	v_mfma_scale_f32_16x16x128_f8f6f4 a[28:31], v[100:103], v[36:39], a[28:31], v173, v169 op_sel_hi:[0,0,0] cbsz:4 blgp:4// 000000004E60: D3AC7800 180353AD D3AD8C1C 84724964
	buffer_load_dword v176, v201, s[24:27], 0 offen            // 000000004E70: E0501000 8006B0C9
	s_waitcnt vmcnt(10)                                        // 000000004E78: BF8C0F7A
	v_mfma_scale_f32_16x16x128_f8f6f4 a[32:35], v[104:107], v[24:27], a[32:35], v174, v169 op_sel_hi:[0,0,0] cbsz:4 blgp:4// 000000004E7C: D3AC6000 000353AE D3AD8C20 84823168
	s_add_u32 s63, 0x100, s60                                  // 000000004E8C: 803F3CFF 00000100
	buffer_load_dwordx4 v[152:155], v195, s[16:19], 0 offen    // 000000004E94: E05C1000 800498C3
	v_mfma_scale_f32_16x16x128_f8f6f4 a[36:39], v[104:107], v[28:31], a[36:39], v174, v169 op_sel_hi:[0,0,0] cbsz:4 blgp:4// 000000004E9C: D3AC7000 000353AE D3AD8C24 84923968
	s_cmp_lt_u32 s63, s61                                      // 000000004EAC: BF0A3D3F
	s_cselect_b32 s67, s67, 0                                  // 000000004EB0: 85438043
	v_mfma_scale_f32_16x16x128_f8f6f4 a[40:43], v[108:111], v[24:27], a[40:43], v174, v169 op_sel_hi:[0,0,0] cbsz:4 blgp:4// 000000004EB4: D3AC6800 000353AE D3AD8C28 84A2316C
	s_cselect_b32 s69, s69, 0                                  // 000000004EC4: 85458045
	buffer_load_dwordx4 v[156:159], v196, s[16:19], 0 offen    // 000000004EC8: E05C1000 80049CC4
	v_mfma_scale_f32_16x16x128_f8f6f4 a[44:47], v[108:111], v[28:31], a[44:47], v174, v169 op_sel_hi:[0,0,0] cbsz:4 blgp:4// 000000004ED0: D3AC7800 000353AE D3AD8C2C 84B2396C
	v_mfma_scale_f32_16x16x128_f8f6f4 a[32:35], v[112:115], v[32:35], a[32:35], v174, v169 op_sel_hi:[0,0,0] cbsz:4 blgp:4// 000000004EE0: D3AC6000 180353AE D3AD8C20 84824170
	buffer_load_dwordx4 v[160:163], v195, s[16:19], 0 offen offset:1024// 000000004EF0: E05C1400 8004A0C3
	v_mfma_scale_f32_16x16x128_f8f6f4 a[36:39], v[112:115], v[36:39], a[36:39], v174, v169 op_sel_hi:[0,0,0] cbsz:4 blgp:4// 000000004EF8: D3AC7000 180353AE D3AD8C24 84924970
	v_mfma_scale_f32_16x16x128_f8f6f4 a[40:43], v[116:119], v[32:35], a[40:43], v174, v169 op_sel_hi:[0,0,0] cbsz:4 blgp:4// 000000004F08: D3AC6800 180353AE D3AD8C28 84A24174
	buffer_load_dwordx4 v[164:167], v196, s[16:19], 0 offen offset:1024// 000000004F18: E05C1400 8004A4C4
	v_mfma_scale_f32_16x16x128_f8f6f4 a[44:47], v[116:119], v[36:39], a[44:47], v174, v169 op_sel_hi:[0,0,0] cbsz:4 blgp:4// 000000004F20: D3AC7800 180353AE D3AD8C2C 84B24974
	buffer_load_dword v177, v202, s[24:27], 0 offen            // 000000004F30: E0501000 8006B1CA
	s_add_u32 s16, s16, s67                                    // 000000004F38: 80104310
	s_addc_u32 s17, 0, s17                                     // 000000004F3C: 82111180
	s_sub_u32 s18, s18, s67                                    // 000000004F40: 80924312
	s_add_u32 s24, s24, s69                                    // 000000004F44: 80184518
	s_addc_u32 s25, 0, s25                                     // 000000004F48: 82191980
	s_sub_u32 s26, s26, s69                                    // 000000004F4C: 809A451A
	s_add_u32 m0, 0xc00, s65                                   // 000000004F50: 807C41FF 00000C00
	buffer_load_dword v183, s[20:23], 0 offen lds              // 000000004F58: E0511000 800500B7
	s_waitcnt vmcnt(11)                                        // 000000004F60: BF8C0F7B
	v_mfma_scale_f32_16x16x128_f8f6f4 a[48:51], v[120:123], v[24:27], a[48:51], v175, v169 op_sel_hi:[0,0,0] cbsz:4 blgp:4// 000000004F64: D3AC6000 000353AF D3AD8C30 84C23178
	s_add_u32 m0, 0x3180, s64                                  // 000000004F74: 807C40FF 00003180
	buffer_load_dwordx4 v178, s[12:15], 0 offen lds            // 000000004F7C: E05D1000 800300B2
	v_mfma_scale_f32_16x16x128_f8f6f4 a[52:55], v[120:123], v[28:31], a[52:55], v175, v169 op_sel_hi:[0,0,0] cbsz:4 blgp:4// 000000004F84: D3AC7000 000353AF D3AD8C34 84D23978
	s_add_u32 s62, 0x300, s60                                  // 000000004F94: 803E3CFF 00000300
	s_cmp_lt_u32 s62, s61                                      // 000000004F9C: BF0A3D3E
	v_mfma_scale_f32_16x16x128_f8f6f4 a[56:59], v[124:127], v[24:27], a[56:59], v175, v169 op_sel_hi:[0,0,0] cbsz:4 blgp:4// 000000004FA0: D3AC6800 000353AF D3AD8C38 84E2317C
	s_cselect_b32 s66, s66, 0                                  // 000000004FB0: 85428042
	buffer_load_dwordx4 v[72:75], v185, s[16:19], 0 offen      // 000000004FB4: E05C1000 800448B9
	v_mfma_scale_f32_16x16x128_f8f6f4 a[60:63], v[124:127], v[28:31], a[60:63], v175, v169 op_sel_hi:[0,0,0] cbsz:4 blgp:4// 000000004FBC: D3AC7800 000353AF D3AD8C3C 84F2397C
	s_cselect_b32 s68, s68, 0                                  // 000000004FCC: 85448044
	s_add_u32 s12, s12, s66                                    // 000000004FD0: 800C420C
	v_mfma_scale_f32_16x16x128_f8f6f4 a[48:51], v[128:131], v[32:35], a[48:51], v175, v169 op_sel_hi:[0,0,0] cbsz:4 blgp:4// 000000004FD4: D3AC6000 180353AF D3AD8C30 84C24180
	s_addc_u32 s13, 0, s13                                     // 000000004FE4: 820D0D80
	buffer_load_dwordx4 v[76:79], v186, s[16:19], 0 offen      // 000000004FE8: E05C1000 80044CBA
	v_mfma_scale_f32_16x16x128_f8f6f4 a[52:55], v[128:131], v[36:39], a[52:55], v175, v169 op_sel_hi:[0,0,0] cbsz:4 blgp:4// 000000004FF0: D3AC7000 180353AF D3AD8C34 84D24980
	s_sub_u32 s14, s14, s66                                    // 000000005000: 808E420E
	s_add_u32 s20, s20, s68                                    // 000000005004: 80144414
	v_mfma_scale_f32_16x16x128_f8f6f4 a[56:59], v[132:135], v[32:35], a[56:59], v175, v169 op_sel_hi:[0,0,0] cbsz:4 blgp:4// 000000005008: D3AC6800 180353AF D3AD8C38 84E24184
	s_addc_u32 s21, 0, s21                                     // 000000005018: 82151580
	buffer_load_dwordx4 v[80:83], v185, s[16:19], 0 offen offset:1024// 00000000501C: E05C1400 800450B9
	v_mfma_scale_f32_16x16x128_f8f6f4 a[60:63], v[132:135], v[36:39], a[60:63], v175, v169 op_sel_hi:[0,0,0] cbsz:4 blgp:4// 000000005024: D3AC7800 180353AF D3AD8C3C 84F24984
	s_sub_u32 s22, s22, s68                                    // 000000005034: 80964416
	buffer_load_dwordx4 v[84:87], v186, s[16:19], 0 offen offset:1024// 000000005038: E05C1400 800454BA
	buffer_load_dword v172, v197, s[24:27], 0 offen            // 000000005040: E0501000 8006ACC5
	s_waitcnt vmcnt(12)                                        // 000000005048: BF8C0F7C
	v_mfma_scale_f32_16x16x128_f8f6f4 a[64:67], v[136:139], v[24:27], a[64:67], v176, v169 op_sel_hi:[0,0,0] cbsz:4 blgp:4// 00000000504C: D3AC6000 000353B0 D3AD8C40 85023188
	buffer_load_dwordx4 v[88:91], v187, s[16:19], 0 offen      // 00000000505C: E05C1000 800458BB
	v_mfma_scale_f32_16x16x128_f8f6f4 a[68:71], v[136:139], v[28:31], a[68:71], v176, v169 op_sel_hi:[0,0,0] cbsz:4 blgp:4// 000000005064: D3AC7000 000353B0 D3AD8C44 85123988
	v_mfma_scale_f32_16x16x128_f8f6f4 a[72:75], v[140:143], v[24:27], a[72:75], v176, v169 op_sel_hi:[0,0,0] cbsz:4 blgp:4// 000000005074: D3AC6800 000353B0 D3AD8C48 8522318C
	buffer_load_dwordx4 v[92:95], v188, s[16:19], 0 offen      // 000000005084: E05C1000 80045CBC
	v_mfma_scale_f32_16x16x128_f8f6f4 a[76:79], v[140:143], v[28:31], a[76:79], v176, v169 op_sel_hi:[0,0,0] cbsz:4 blgp:4// 00000000508C: D3AC7800 000353B0 D3AD8C4C 8532398C
	v_mfma_scale_f32_16x16x128_f8f6f4 a[64:67], v[144:147], v[32:35], a[64:67], v176, v169 op_sel_hi:[0,0,0] cbsz:4 blgp:4// 00000000509C: D3AC6000 180353B0 D3AD8C40 85024190
	buffer_load_dwordx4 v[96:99], v187, s[16:19], 0 offen offset:1024// 0000000050AC: E05C1400 800460BB
	v_mfma_scale_f32_16x16x128_f8f6f4 a[68:71], v[144:147], v[36:39], a[68:71], v176, v169 op_sel_hi:[0,0,0] cbsz:4 blgp:4// 0000000050B4: D3AC7000 180353B0 D3AD8C44 85124990
	v_mfma_scale_f32_16x16x128_f8f6f4 a[72:75], v[148:151], v[32:35], a[72:75], v176, v169 op_sel_hi:[0,0,0] cbsz:4 blgp:4// 0000000050C4: D3AC6800 180353B0 D3AD8C48 85224194
	buffer_load_dwordx4 v[100:103], v188, s[16:19], 0 offen offset:1024// 0000000050D4: E05C1400 800464BC
	v_mfma_scale_f32_16x16x128_f8f6f4 a[76:79], v[148:151], v[36:39], a[76:79], v176, v169 op_sel_hi:[0,0,0] cbsz:4 blgp:4// 0000000050DC: D3AC7800 180353B0 D3AD8C4C 85324994
	buffer_load_dword v173, v198, s[24:27], 0 offen            // 0000000050EC: E0501000 8006ADC6
	s_waitcnt vmcnt(10)                                        // 0000000050F4: BF8C0F7A
	s_barrier                                                  // 0000000050F8: BF8A0000
	v_mfma_scale_f32_16x16x128_f8f6f4 a[80:83], v[152:155], v[24:27], a[80:83], v177, v169 op_sel_hi:[0,0,0] cbsz:4 blgp:4// 0000000050FC: D3AC6000 000353B1 D3AD8C50 85423198
	s_addk_i32 s60, 0x100                                      // 00000000510C: B73C0100
	buffer_load_dwordx4 v[104:107], v189, s[16:19], 0 offen    // 000000005110: E05C1000 800468BD
	v_mfma_scale_f32_16x16x128_f8f6f4 a[84:87], v[152:155], v[28:31], a[84:87], v177, v169 op_sel_hi:[0,0,0] cbsz:4 blgp:4// 000000005118: D3AC7000 000353B1 D3AD8C54 85523998
	s_cmp_lt_i32 s60, s61                                      // 000000005128: BF043D3C
	ds_read_b128 v[56:59], v182                                // 00000000512C: D9FE0000 380000B6
	v_mfma_scale_f32_16x16x128_f8f6f4 a[88:91], v[156:159], v[24:27], a[88:91], v177, v169 op_sel_hi:[0,0,0] cbsz:4 blgp:4// 000000005134: D3AC6800 000353B1 D3AD8C58 8562319C
	buffer_load_dwordx4 v[108:111], v190, s[16:19], 0 offen    // 000000005144: E05C1000 80046CBE
	v_mfma_scale_f32_16x16x128_f8f6f4 a[92:95], v[156:159], v[28:31], a[92:95], v177, v169 op_sel_hi:[0,0,0] cbsz:4 blgp:4// 00000000514C: D3AC7800 000353B1 D3AD8C5C 8572399C
	ds_read_b128 v[64:67], v182 offset:64                      // 00000000515C: D9FE0040 400000B6
	v_mfma_scale_f32_16x16x128_f8f6f4 a[80:83], v[160:163], v[32:35], a[80:83], v177, v169 op_sel_hi:[0,0,0] cbsz:4 blgp:4// 000000005164: D3AC6000 180353B1 D3AD8C50 854241A0
	buffer_load_dwordx4 v[112:115], v189, s[16:19], 0 offen offset:1024// 000000005174: E05C1400 800470BD
	v_mfma_scale_f32_16x16x128_f8f6f4 a[84:87], v[160:163], v[36:39], a[84:87], v177, v169 op_sel_hi:[0,0,0] cbsz:4 blgp:4// 00000000517C: D3AC7000 180353B1 D3AD8C54 855249A0
	ds_read_b128 v[60:63], v182 offset:512                     // 00000000518C: D9FE0200 3C0000B6
	v_mfma_scale_f32_16x16x128_f8f6f4 a[88:91], v[164:167], v[32:35], a[88:91], v177, v169 op_sel_hi:[0,0,0] cbsz:4 blgp:4// 000000005194: D3AC6800 180353B1 D3AD8C58 856241A4
	buffer_load_dwordx4 v[116:119], v190, s[16:19], 0 offen offset:1024// 0000000051A4: E05C1400 800474BE
	v_mfma_scale_f32_16x16x128_f8f6f4 a[92:95], v[164:167], v[36:39], a[92:95], v177, v169 op_sel_hi:[0,0,0] cbsz:4 blgp:4// 0000000051AC: D3AC7800 180353B1 D3AD8C5C 857249A4
	ds_read_b128 v[68:71], v182 offset:576                     // 0000000051BC: D9FE0240 440000B6
	ds_read_b32 v171, v184 offset:3072                         // 0000000051C4: D86C0C00 AB0000B8
	buffer_load_dword v174, v199, s[24:27], 0 offen            // 0000000051CC: E0501000 8006AEC7
	s_cbranch_scc0 label_0BD1                                  // 0000000051D4: BF84025B
	s_waitcnt vmcnt(10) lgkmcnt(5)                             // 0000000051D8: BF8C057A
	v_mfma_scale_f32_16x16x128_f8f6f4 a[0:3], v[72:75], v[40:43], a[0:3], v172, v170 op_sel_hi:[0,0,0] cbsz:4 blgp:4// 0000000051DC: D3AC6000 000355AC D3AD8C00 84025148
	buffer_load_dwordx4 v[120:123], v191, s[16:19], 0 offen    // 0000000051EC: E05C1000 800478BF
	v_mfma_scale_f32_16x16x128_f8f6f4 a[4:7], v[72:75], v[44:47], a[4:7], v172, v170 op_sel_hi:[0,0,0] cbsz:4 blgp:4// 0000000051F4: D3AC7000 000355AC D3AD8C04 84125948
	v_mfma_scale_f32_16x16x128_f8f6f4 a[8:11], v[76:79], v[40:43], a[8:11], v172, v170 op_sel_hi:[0,0,0] cbsz:4 blgp:4// 000000005204: D3AC6800 000355AC D3AD8C08 8422514C
	buffer_load_dwordx4 v[124:127], v192, s[16:19], 0 offen    // 000000005214: E05C1000 80047CC0
	v_mfma_scale_f32_16x16x128_f8f6f4 a[12:15], v[76:79], v[44:47], a[12:15], v172, v170 op_sel_hi:[0,0,0] cbsz:4 blgp:4// 00000000521C: D3AC7800 000355AC D3AD8C0C 8432594C
	v_mfma_scale_f32_16x16x128_f8f6f4 a[0:3], v[80:83], v[48:51], a[0:3], v172, v170 op_sel_hi:[0,0,0] cbsz:4 blgp:4// 00000000522C: D3AC6000 180355AC D3AD8C00 84026150
	buffer_load_dwordx4 v[128:131], v191, s[16:19], 0 offen offset:1024// 00000000523C: E05C1400 800480BF
	v_mfma_scale_f32_16x16x128_f8f6f4 a[4:7], v[80:83], v[52:55], a[4:7], v172, v170 op_sel_hi:[0,0,0] cbsz:4 blgp:4// 000000005244: D3AC7000 180355AC D3AD8C04 84126950
	v_mfma_scale_f32_16x16x128_f8f6f4 a[8:11], v[84:87], v[48:51], a[8:11], v172, v170 op_sel_hi:[0,0,0] cbsz:4 blgp:4// 000000005254: D3AC6800 180355AC D3AD8C08 84226154
	buffer_load_dwordx4 v[132:135], v192, s[16:19], 0 offen offset:1024// 000000005264: E05C1400 800484C0
	v_mfma_scale_f32_16x16x128_f8f6f4 a[12:15], v[84:87], v[52:55], a[12:15], v172, v170 op_sel_hi:[0,0,0] cbsz:4 blgp:4// 00000000526C: D3AC7800 180355AC D3AD8C0C 84326954
	buffer_load_dword v175, v200, s[24:27], 0 offen            // 00000000527C: E0501000 8006AFC8
	s_waitcnt vmcnt(10)                                        // 000000005284: BF8C0F7A
	v_mfma_scale_f32_16x16x128_f8f6f4 a[16:19], v[88:91], v[40:43], a[16:19], v173, v170 op_sel_hi:[0,0,0] cbsz:4 blgp:4// 000000005288: D3AC6000 000355AD D3AD8C10 84425158
	buffer_load_dwordx4 v[136:139], v193, s[16:19], 0 offen    // 000000005298: E05C1000 800488C1
	v_mfma_scale_f32_16x16x128_f8f6f4 a[20:23], v[88:91], v[44:47], a[20:23], v173, v170 op_sel_hi:[0,0,0] cbsz:4 blgp:4// 0000000052A0: D3AC7000 000355AD D3AD8C14 84525958
	v_mfma_scale_f32_16x16x128_f8f6f4 a[24:27], v[92:95], v[40:43], a[24:27], v173, v170 op_sel_hi:[0,0,0] cbsz:4 blgp:4// 0000000052B0: D3AC6800 000355AD D3AD8C18 8462515C
	buffer_load_dwordx4 v[140:143], v194, s[16:19], 0 offen    // 0000000052C0: E05C1000 80048CC2
	v_mfma_scale_f32_16x16x128_f8f6f4 a[28:31], v[92:95], v[44:47], a[28:31], v173, v170 op_sel_hi:[0,0,0] cbsz:4 blgp:4// 0000000052C8: D3AC7800 000355AD D3AD8C1C 8472595C
	v_mfma_scale_f32_16x16x128_f8f6f4 a[16:19], v[96:99], v[48:51], a[16:19], v173, v170 op_sel_hi:[0,0,0] cbsz:4 blgp:4// 0000000052D8: D3AC6000 180355AD D3AD8C10 84426160
	buffer_load_dwordx4 v[144:147], v193, s[16:19], 0 offen offset:1024// 0000000052E8: E05C1400 800490C1
	v_mfma_scale_f32_16x16x128_f8f6f4 a[20:23], v[96:99], v[52:55], a[20:23], v173, v170 op_sel_hi:[0,0,0] cbsz:4 blgp:4// 0000000052F0: D3AC7000 180355AD D3AD8C14 84526960
	v_mfma_scale_f32_16x16x128_f8f6f4 a[24:27], v[100:103], v[48:51], a[24:27], v173, v170 op_sel_hi:[0,0,0] cbsz:4 blgp:4// 000000005300: D3AC6800 180355AD D3AD8C18 84626164
	buffer_load_dwordx4 v[148:151], v194, s[16:19], 0 offen offset:1024// 000000005310: E05C1400 800494C2
	v_mfma_scale_f32_16x16x128_f8f6f4 a[28:31], v[100:103], v[52:55], a[28:31], v173, v170 op_sel_hi:[0,0,0] cbsz:4 blgp:4// 000000005318: D3AC7800 180355AD D3AD8C1C 84726964
	buffer_load_dword v176, v201, s[24:27], 0 offen            // 000000005328: E0501000 8006B0C9
	s_waitcnt vmcnt(10)                                        // 000000005330: BF8C0F7A
	v_mfma_scale_f32_16x16x128_f8f6f4 a[32:35], v[104:107], v[40:43], a[32:35], v174, v170 op_sel_hi:[0,0,0] cbsz:4 blgp:4// 000000005334: D3AC6000 000355AE D3AD8C20 84825168
	s_add_u32 s63, 0x100, s60                                  // 000000005344: 803F3CFF 00000100
	buffer_load_dwordx4 v[152:155], v195, s[16:19], 0 offen    // 00000000534C: E05C1000 800498C3
	v_mfma_scale_f32_16x16x128_f8f6f4 a[36:39], v[104:107], v[44:47], a[36:39], v174, v170 op_sel_hi:[0,0,0] cbsz:4 blgp:4// 000000005354: D3AC7000 000355AE D3AD8C24 84925968
	s_cmp_lt_u32 s63, s61                                      // 000000005364: BF0A3D3F
	s_cselect_b32 s67, s67, 0                                  // 000000005368: 85438043
	v_mfma_scale_f32_16x16x128_f8f6f4 a[40:43], v[108:111], v[40:43], a[40:43], v174, v170 op_sel_hi:[0,0,0] cbsz:4 blgp:4// 00000000536C: D3AC6800 000355AE D3AD8C28 84A2516C
	s_cselect_b32 s69, s69, 0                                  // 00000000537C: 85458045
	buffer_load_dwordx4 v[156:159], v196, s[16:19], 0 offen    // 000000005380: E05C1000 80049CC4
	v_mfma_scale_f32_16x16x128_f8f6f4 a[44:47], v[108:111], v[44:47], a[44:47], v174, v170 op_sel_hi:[0,0,0] cbsz:4 blgp:4// 000000005388: D3AC7800 000355AE D3AD8C2C 84B2596C
	v_mfma_scale_f32_16x16x128_f8f6f4 a[32:35], v[112:115], v[48:51], a[32:35], v174, v170 op_sel_hi:[0,0,0] cbsz:4 blgp:4// 000000005398: D3AC6000 180355AE D3AD8C20 84826170
	buffer_load_dwordx4 v[160:163], v195, s[16:19], 0 offen offset:1024// 0000000053A8: E05C1400 8004A0C3
	v_mfma_scale_f32_16x16x128_f8f6f4 a[36:39], v[112:115], v[52:55], a[36:39], v174, v170 op_sel_hi:[0,0,0] cbsz:4 blgp:4// 0000000053B0: D3AC7000 180355AE D3AD8C24 84926970
	v_mfma_scale_f32_16x16x128_f8f6f4 a[40:43], v[116:119], v[48:51], a[40:43], v174, v170 op_sel_hi:[0,0,0] cbsz:4 blgp:4// 0000000053C0: D3AC6800 180355AE D3AD8C28 84A26174
	buffer_load_dwordx4 v[164:167], v196, s[16:19], 0 offen offset:1024// 0000000053D0: E05C1400 8004A4C4
	v_mfma_scale_f32_16x16x128_f8f6f4 a[44:47], v[116:119], v[52:55], a[44:47], v174, v170 op_sel_hi:[0,0,0] cbsz:4 blgp:4// 0000000053D8: D3AC7800 180355AE D3AD8C2C 84B26974
	buffer_load_dword v177, v202, s[24:27], 0 offen            // 0000000053E8: E0501000 8006B1CA
	s_add_u32 s16, s16, s67                                    // 0000000053F0: 80104310
	s_addc_u32 s17, 0, s17                                     // 0000000053F4: 82111180
	s_sub_u32 s18, s18, s67                                    // 0000000053F8: 80924312
	s_add_u32 s24, s24, s69                                    // 0000000053FC: 80184518
	s_addc_u32 s25, 0, s25                                     // 000000005400: 82191980
	s_sub_u32 s26, s26, s69                                    // 000000005404: 809A451A
	s_add_u32 m0, 0, s65                                       // 000000005408: 807C4180
	buffer_load_dword v183, s[20:23], 0 offen lds              // 00000000540C: E0511000 800500B7
	s_waitcnt vmcnt(11)                                        // 000000005414: BF8C0F7B
	v_mfma_scale_f32_16x16x128_f8f6f4 a[48:51], v[120:123], v[40:43], a[48:51], v175, v170 op_sel_hi:[0,0,0] cbsz:4 blgp:4// 000000005418: D3AC6000 000355AF D3AD8C30 84C25178
	s_add_u32 m0, 0, s64                                       // 000000005428: 807C4080
	buffer_load_dwordx4 v178, s[12:15], 0 offen lds            // 00000000542C: E05D1000 800300B2
	v_mfma_scale_f32_16x16x128_f8f6f4 a[52:55], v[120:123], v[44:47], a[52:55], v175, v170 op_sel_hi:[0,0,0] cbsz:4 blgp:4// 000000005434: D3AC7000 000355AF D3AD8C34 84D25978
	s_add_u32 s62, 0x300, s60                                  // 000000005444: 803E3CFF 00000300
	s_cmp_lt_u32 s62, s61                                      // 00000000544C: BF0A3D3E
	v_mfma_scale_f32_16x16x128_f8f6f4 a[56:59], v[124:127], v[40:43], a[56:59], v175, v170 op_sel_hi:[0,0,0] cbsz:4 blgp:4// 000000005450: D3AC6800 000355AF D3AD8C38 84E2517C
	s_cselect_b32 s66, s66, 0                                  // 000000005460: 85428042
	buffer_load_dwordx4 v[72:75], v185, s[16:19], 0 offen      // 000000005464: E05C1000 800448B9
	v_mfma_scale_f32_16x16x128_f8f6f4 a[60:63], v[124:127], v[44:47], a[60:63], v175, v170 op_sel_hi:[0,0,0] cbsz:4 blgp:4// 00000000546C: D3AC7800 000355AF D3AD8C3C 84F2597C
	s_cselect_b32 s68, s68, 0                                  // 00000000547C: 85448044
	s_add_u32 s12, s12, s66                                    // 000000005480: 800C420C
	v_mfma_scale_f32_16x16x128_f8f6f4 a[48:51], v[128:131], v[48:51], a[48:51], v175, v170 op_sel_hi:[0,0,0] cbsz:4 blgp:4// 000000005484: D3AC6000 180355AF D3AD8C30 84C26180
	s_addc_u32 s13, 0, s13                                     // 000000005494: 820D0D80
	buffer_load_dwordx4 v[76:79], v186, s[16:19], 0 offen      // 000000005498: E05C1000 80044CBA
	v_mfma_scale_f32_16x16x128_f8f6f4 a[52:55], v[128:131], v[52:55], a[52:55], v175, v170 op_sel_hi:[0,0,0] cbsz:4 blgp:4// 0000000054A0: D3AC7000 180355AF D3AD8C34 84D26980
	s_sub_u32 s14, s14, s66                                    // 0000000054B0: 808E420E
	s_add_u32 s20, s20, s68                                    // 0000000054B4: 80144414
	v_mfma_scale_f32_16x16x128_f8f6f4 a[56:59], v[132:135], v[48:51], a[56:59], v175, v170 op_sel_hi:[0,0,0] cbsz:4 blgp:4// 0000000054B8: D3AC6800 180355AF D3AD8C38 84E26184
	s_addc_u32 s21, 0, s21                                     // 0000000054C8: 82151580
	buffer_load_dwordx4 v[80:83], v185, s[16:19], 0 offen offset:1024// 0000000054CC: E05C1400 800450B9
	v_mfma_scale_f32_16x16x128_f8f6f4 a[60:63], v[132:135], v[52:55], a[60:63], v175, v170 op_sel_hi:[0,0,0] cbsz:4 blgp:4// 0000000054D4: D3AC7800 180355AF D3AD8C3C 84F26984
	s_sub_u32 s22, s22, s68                                    // 0000000054E4: 80964416
	buffer_load_dwordx4 v[84:87], v186, s[16:19], 0 offen offset:1024// 0000000054E8: E05C1400 800454BA
	buffer_load_dword v172, v197, s[24:27], 0 offen            // 0000000054F0: E0501000 8006ACC5
	s_waitcnt vmcnt(12)                                        // 0000000054F8: BF8C0F7C
	v_mfma_scale_f32_16x16x128_f8f6f4 a[64:67], v[136:139], v[40:43], a[64:67], v176, v170 op_sel_hi:[0,0,0] cbsz:4 blgp:4// 0000000054FC: D3AC6000 000355B0 D3AD8C40 85025188
	buffer_load_dwordx4 v[88:91], v187, s[16:19], 0 offen      // 00000000550C: E05C1000 800458BB
	v_mfma_scale_f32_16x16x128_f8f6f4 a[68:71], v[136:139], v[44:47], a[68:71], v176, v170 op_sel_hi:[0,0,0] cbsz:4 blgp:4// 000000005514: D3AC7000 000355B0 D3AD8C44 85125988
	v_mfma_scale_f32_16x16x128_f8f6f4 a[72:75], v[140:143], v[40:43], a[72:75], v176, v170 op_sel_hi:[0,0,0] cbsz:4 blgp:4// 000000005524: D3AC6800 000355B0 D3AD8C48 8522518C
	buffer_load_dwordx4 v[92:95], v188, s[16:19], 0 offen      // 000000005534: E05C1000 80045CBC
	v_mfma_scale_f32_16x16x128_f8f6f4 a[76:79], v[140:143], v[44:47], a[76:79], v176, v170 op_sel_hi:[0,0,0] cbsz:4 blgp:4// 00000000553C: D3AC7800 000355B0 D3AD8C4C 8532598C
	v_mfma_scale_f32_16x16x128_f8f6f4 a[64:67], v[144:147], v[48:51], a[64:67], v176, v170 op_sel_hi:[0,0,0] cbsz:4 blgp:4// 00000000554C: D3AC6000 180355B0 D3AD8C40 85026190
	buffer_load_dwordx4 v[96:99], v187, s[16:19], 0 offen offset:1024// 00000000555C: E05C1400 800460BB
	v_mfma_scale_f32_16x16x128_f8f6f4 a[68:71], v[144:147], v[52:55], a[68:71], v176, v170 op_sel_hi:[0,0,0] cbsz:4 blgp:4// 000000005564: D3AC7000 180355B0 D3AD8C44 85126990
	v_mfma_scale_f32_16x16x128_f8f6f4 a[72:75], v[148:151], v[48:51], a[72:75], v176, v170 op_sel_hi:[0,0,0] cbsz:4 blgp:4// 000000005574: D3AC6800 180355B0 D3AD8C48 85226194
	buffer_load_dwordx4 v[100:103], v188, s[16:19], 0 offen offset:1024// 000000005584: E05C1400 800464BC
	v_mfma_scale_f32_16x16x128_f8f6f4 a[76:79], v[148:151], v[52:55], a[76:79], v176, v170 op_sel_hi:[0,0,0] cbsz:4 blgp:4// 00000000558C: D3AC7800 180355B0 D3AD8C4C 85326994
	buffer_load_dword v173, v198, s[24:27], 0 offen            // 00000000559C: E0501000 8006ADC6
	s_waitcnt vmcnt(10)                                        // 0000000055A4: BF8C0F7A
	s_barrier                                                  // 0000000055A8: BF8A0000
	v_mfma_scale_f32_16x16x128_f8f6f4 a[80:83], v[152:155], v[40:43], a[80:83], v177, v170 op_sel_hi:[0,0,0] cbsz:4 blgp:4// 0000000055AC: D3AC6000 000355B1 D3AD8C50 85425198
	s_addk_i32 s60, 0x100                                      // 0000000055BC: B73C0100
	buffer_load_dwordx4 v[104:107], v189, s[16:19], 0 offen    // 0000000055C0: E05C1000 800468BD
	v_mfma_scale_f32_16x16x128_f8f6f4 a[84:87], v[152:155], v[44:47], a[84:87], v177, v170 op_sel_hi:[0,0,0] cbsz:4 blgp:4// 0000000055C8: D3AC7000 000355B1 D3AD8C54 85525998
	s_cmp_lt_i32 s60, s61                                      // 0000000055D8: BF043D3C
	ds_read_b128 v[8:11], v179                                 // 0000000055DC: D9FE0000 080000B3
	v_mfma_scale_f32_16x16x128_f8f6f4 a[88:91], v[156:159], v[40:43], a[88:91], v177, v170 op_sel_hi:[0,0,0] cbsz:4 blgp:4// 0000000055E4: D3AC6800 000355B1 D3AD8C58 8562519C
	buffer_load_dwordx4 v[108:111], v190, s[16:19], 0 offen    // 0000000055F4: E05C1000 80046CBE
	v_mfma_scale_f32_16x16x128_f8f6f4 a[92:95], v[156:159], v[44:47], a[92:95], v177, v170 op_sel_hi:[0,0,0] cbsz:4 blgp:4// 0000000055FC: D3AC7800 000355B1 D3AD8C5C 8572599C
	ds_read_b128 v[16:19], v179 offset:64                      // 00000000560C: D9FE0040 100000B3
	v_mfma_scale_f32_16x16x128_f8f6f4 a[80:83], v[160:163], v[48:51], a[80:83], v177, v170 op_sel_hi:[0,0,0] cbsz:4 blgp:4// 000000005614: D3AC6000 180355B1 D3AD8C50 854261A0
	buffer_load_dwordx4 v[112:115], v189, s[16:19], 0 offen offset:1024// 000000005624: E05C1400 800470BD
	v_mfma_scale_f32_16x16x128_f8f6f4 a[84:87], v[160:163], v[52:55], a[84:87], v177, v170 op_sel_hi:[0,0,0] cbsz:4 blgp:4// 00000000562C: D3AC7000 180355B1 D3AD8C54 855269A0
	ds_read_b128 v[12:15], v179 offset:512                     // 00000000563C: D9FE0200 0C0000B3
	v_mfma_scale_f32_16x16x128_f8f6f4 a[88:91], v[164:167], v[48:51], a[88:91], v177, v170 op_sel_hi:[0,0,0] cbsz:4 blgp:4// 000000005644: D3AC6800 180355B1 D3AD8C58 856261A4
	buffer_load_dwordx4 v[116:119], v190, s[16:19], 0 offen offset:1024// 000000005654: E05C1400 800474BE
	v_mfma_scale_f32_16x16x128_f8f6f4 a[92:95], v[164:167], v[52:55], a[92:95], v177, v170 op_sel_hi:[0,0,0] cbsz:4 blgp:4// 00000000565C: D3AC7800 180355B1 D3AD8C5C 857269A4
	ds_read_b128 v[20:23], v179 offset:576                     // 00000000566C: D9FE0240 140000B3
	ds_read_b32 v168, v184                                     // 000000005674: D86C0000 A80000B8
	buffer_load_dword v174, v199, s[24:27], 0 offen            // 00000000567C: E0501000 8006AEC7
	s_cbranch_scc0 label_0BD1                                  // 000000005684: BF84012F
	s_waitcnt vmcnt(10) lgkmcnt(5)                             // 000000005688: BF8C057A
	v_mfma_scale_f32_16x16x128_f8f6f4 a[0:3], v[72:75], v[56:59], a[0:3], v172, v171 op_sel_hi:[0,0,0] cbsz:4 blgp:4// 00000000568C: D3AC6000 000357AC D3AD8C00 84027148
	buffer_load_dwordx4 v[120:123], v191, s[16:19], 0 offen    // 00000000569C: E05C1000 800478BF
	v_mfma_scale_f32_16x16x128_f8f6f4 a[4:7], v[72:75], v[60:63], a[4:7], v172, v171 op_sel_hi:[0,0,0] cbsz:4 blgp:4// 0000000056A4: D3AC7000 000357AC D3AD8C04 84127948
	v_mfma_scale_f32_16x16x128_f8f6f4 a[8:11], v[76:79], v[56:59], a[8:11], v172, v171 op_sel_hi:[0,0,0] cbsz:4 blgp:4// 0000000056B4: D3AC6800 000357AC D3AD8C08 8422714C
	buffer_load_dwordx4 v[124:127], v192, s[16:19], 0 offen    // 0000000056C4: E05C1000 80047CC0
	v_mfma_scale_f32_16x16x128_f8f6f4 a[12:15], v[76:79], v[60:63], a[12:15], v172, v171 op_sel_hi:[0,0,0] cbsz:4 blgp:4// 0000000056CC: D3AC7800 000357AC D3AD8C0C 8432794C
	v_mfma_scale_f32_16x16x128_f8f6f4 a[0:3], v[80:83], v[64:67], a[0:3], v172, v171 op_sel_hi:[0,0,0] cbsz:4 blgp:4// 0000000056DC: D3AC6000 180357AC D3AD8C00 84028150
	buffer_load_dwordx4 v[128:131], v191, s[16:19], 0 offen offset:1024// 0000000056EC: E05C1400 800480BF
	v_mfma_scale_f32_16x16x128_f8f6f4 a[4:7], v[80:83], v[68:71], a[4:7], v172, v171 op_sel_hi:[0,0,0] cbsz:4 blgp:4// 0000000056F4: D3AC7000 180357AC D3AD8C04 84128950
	v_mfma_scale_f32_16x16x128_f8f6f4 a[8:11], v[84:87], v[64:67], a[8:11], v172, v171 op_sel_hi:[0,0,0] cbsz:4 blgp:4// 000000005704: D3AC6800 180357AC D3AD8C08 84228154
	buffer_load_dwordx4 v[132:135], v192, s[16:19], 0 offen offset:1024// 000000005714: E05C1400 800484C0
	v_mfma_scale_f32_16x16x128_f8f6f4 a[12:15], v[84:87], v[68:71], a[12:15], v172, v171 op_sel_hi:[0,0,0] cbsz:4 blgp:4// 00000000571C: D3AC7800 180357AC D3AD8C0C 84328954
	buffer_load_dword v175, v200, s[24:27], 0 offen            // 00000000572C: E0501000 8006AFC8
	s_waitcnt vmcnt(10)                                        // 000000005734: BF8C0F7A
	v_mfma_scale_f32_16x16x128_f8f6f4 a[16:19], v[88:91], v[56:59], a[16:19], v173, v171 op_sel_hi:[0,0,0] cbsz:4 blgp:4// 000000005738: D3AC6000 000357AD D3AD8C10 84427158
	buffer_load_dwordx4 v[136:139], v193, s[16:19], 0 offen    // 000000005748: E05C1000 800488C1
	v_mfma_scale_f32_16x16x128_f8f6f4 a[20:23], v[88:91], v[60:63], a[20:23], v173, v171 op_sel_hi:[0,0,0] cbsz:4 blgp:4// 000000005750: D3AC7000 000357AD D3AD8C14 84527958
	v_mfma_scale_f32_16x16x128_f8f6f4 a[24:27], v[92:95], v[56:59], a[24:27], v173, v171 op_sel_hi:[0,0,0] cbsz:4 blgp:4// 000000005760: D3AC6800 000357AD D3AD8C18 8462715C
	buffer_load_dwordx4 v[140:143], v194, s[16:19], 0 offen    // 000000005770: E05C1000 80048CC2
	v_mfma_scale_f32_16x16x128_f8f6f4 a[28:31], v[92:95], v[60:63], a[28:31], v173, v171 op_sel_hi:[0,0,0] cbsz:4 blgp:4// 000000005778: D3AC7800 000357AD D3AD8C1C 8472795C
	v_mfma_scale_f32_16x16x128_f8f6f4 a[16:19], v[96:99], v[64:67], a[16:19], v173, v171 op_sel_hi:[0,0,0] cbsz:4 blgp:4// 000000005788: D3AC6000 180357AD D3AD8C10 84428160
	buffer_load_dwordx4 v[144:147], v193, s[16:19], 0 offen offset:1024// 000000005798: E05C1400 800490C1
	v_mfma_scale_f32_16x16x128_f8f6f4 a[20:23], v[96:99], v[68:71], a[20:23], v173, v171 op_sel_hi:[0,0,0] cbsz:4 blgp:4// 0000000057A0: D3AC7000 180357AD D3AD8C14 84528960
	v_mfma_scale_f32_16x16x128_f8f6f4 a[24:27], v[100:103], v[64:67], a[24:27], v173, v171 op_sel_hi:[0,0,0] cbsz:4 blgp:4// 0000000057B0: D3AC6800 180357AD D3AD8C18 84628164
	buffer_load_dwordx4 v[148:151], v194, s[16:19], 0 offen offset:1024// 0000000057C0: E05C1400 800494C2
	v_mfma_scale_f32_16x16x128_f8f6f4 a[28:31], v[100:103], v[68:71], a[28:31], v173, v171 op_sel_hi:[0,0,0] cbsz:4 blgp:4// 0000000057C8: D3AC7800 180357AD D3AD8C1C 84728964
	buffer_load_dword v176, v201, s[24:27], 0 offen            // 0000000057D8: E0501000 8006B0C9
	s_waitcnt vmcnt(10)                                        // 0000000057E0: BF8C0F7A
	v_mfma_scale_f32_16x16x128_f8f6f4 a[32:35], v[104:107], v[56:59], a[32:35], v174, v171 op_sel_hi:[0,0,0] cbsz:4 blgp:4// 0000000057E4: D3AC6000 000357AE D3AD8C20 84827168
	s_add_u32 s63, 0x100, s60                                  // 0000000057F4: 803F3CFF 00000100
	buffer_load_dwordx4 v[152:155], v195, s[16:19], 0 offen    // 0000000057FC: E05C1000 800498C3
	v_mfma_scale_f32_16x16x128_f8f6f4 a[36:39], v[104:107], v[60:63], a[36:39], v174, v171 op_sel_hi:[0,0,0] cbsz:4 blgp:4// 000000005804: D3AC7000 000357AE D3AD8C24 84927968
	s_cmp_lt_u32 s63, s61                                      // 000000005814: BF0A3D3F
	s_cselect_b32 s67, s67, 0                                  // 000000005818: 85438043
	v_mfma_scale_f32_16x16x128_f8f6f4 a[40:43], v[108:111], v[56:59], a[40:43], v174, v171 op_sel_hi:[0,0,0] cbsz:4 blgp:4// 00000000581C: D3AC6800 000357AE D3AD8C28 84A2716C
	s_cselect_b32 s69, s69, 0                                  // 00000000582C: 85458045
	buffer_load_dwordx4 v[156:159], v196, s[16:19], 0 offen    // 000000005830: E05C1000 80049CC4
	v_mfma_scale_f32_16x16x128_f8f6f4 a[44:47], v[108:111], v[60:63], a[44:47], v174, v171 op_sel_hi:[0,0,0] cbsz:4 blgp:4// 000000005838: D3AC7800 000357AE D3AD8C2C 84B2796C
	v_mfma_scale_f32_16x16x128_f8f6f4 a[32:35], v[112:115], v[64:67], a[32:35], v174, v171 op_sel_hi:[0,0,0] cbsz:4 blgp:4// 000000005848: D3AC6000 180357AE D3AD8C20 84828170
	buffer_load_dwordx4 v[160:163], v195, s[16:19], 0 offen offset:1024// 000000005858: E05C1400 8004A0C3
	v_mfma_scale_f32_16x16x128_f8f6f4 a[36:39], v[112:115], v[68:71], a[36:39], v174, v171 op_sel_hi:[0,0,0] cbsz:4 blgp:4// 000000005860: D3AC7000 180357AE D3AD8C24 84928970
	v_mfma_scale_f32_16x16x128_f8f6f4 a[40:43], v[116:119], v[64:67], a[40:43], v174, v171 op_sel_hi:[0,0,0] cbsz:4 blgp:4// 000000005870: D3AC6800 180357AE D3AD8C28 84A28174
	buffer_load_dwordx4 v[164:167], v196, s[16:19], 0 offen offset:1024// 000000005880: E05C1400 8004A4C4
	v_mfma_scale_f32_16x16x128_f8f6f4 a[44:47], v[116:119], v[68:71], a[44:47], v174, v171 op_sel_hi:[0,0,0] cbsz:4 blgp:4// 000000005888: D3AC7800 180357AE D3AD8C2C 84B28974
	buffer_load_dword v177, v202, s[24:27], 0 offen            // 000000005898: E0501000 8006B1CA
	s_add_u32 s16, s16, s67                                    // 0000000058A0: 80104310
	s_addc_u32 s17, 0, s17                                     // 0000000058A4: 82111180
	s_sub_u32 s18, s18, s67                                    // 0000000058A8: 80924312
	s_add_u32 s24, s24, s69                                    // 0000000058AC: 80184518
	s_addc_u32 s25, 0, s25                                     // 0000000058B0: 82191980
	s_sub_u32 s26, s26, s69                                    // 0000000058B4: 809A451A
	s_add_u32 m0, 0x400, s65                                   // 0000000058B8: 807C41FF 00000400
	buffer_load_dword v183, s[20:23], 0 offen lds              // 0000000058C0: E0511000 800500B7
	s_waitcnt vmcnt(11)                                        // 0000000058C8: BF8C0F7B
	v_mfma_scale_f32_16x16x128_f8f6f4 a[48:51], v[120:123], v[56:59], a[48:51], v175, v171 op_sel_hi:[0,0,0] cbsz:4 blgp:4// 0000000058CC: D3AC6000 000357AF D3AD8C30 84C27178
	s_add_u32 m0, 0x1080, s64                                  // 0000000058DC: 807C40FF 00001080
	buffer_load_dwordx4 v178, s[12:15], 0 offen lds            // 0000000058E4: E05D1000 800300B2
	v_mfma_scale_f32_16x16x128_f8f6f4 a[52:55], v[120:123], v[60:63], a[52:55], v175, v171 op_sel_hi:[0,0,0] cbsz:4 blgp:4// 0000000058EC: D3AC7000 000357AF D3AD8C34 84D27978
	s_add_u32 s62, 0x300, s60                                  // 0000000058FC: 803E3CFF 00000300
	s_cmp_lt_u32 s62, s61                                      // 000000005904: BF0A3D3E
	v_mfma_scale_f32_16x16x128_f8f6f4 a[56:59], v[124:127], v[56:59], a[56:59], v175, v171 op_sel_hi:[0,0,0] cbsz:4 blgp:4// 000000005908: D3AC6800 000357AF D3AD8C38 84E2717C
	s_cselect_b32 s66, s66, 0                                  // 000000005918: 85428042
	buffer_load_dwordx4 v[72:75], v185, s[16:19], 0 offen      // 00000000591C: E05C1000 800448B9
	v_mfma_scale_f32_16x16x128_f8f6f4 a[60:63], v[124:127], v[60:63], a[60:63], v175, v171 op_sel_hi:[0,0,0] cbsz:4 blgp:4// 000000005924: D3AC7800 000357AF D3AD8C3C 84F2797C
	s_cselect_b32 s68, s68, 0                                  // 000000005934: 85448044
	s_add_u32 s12, s12, s66                                    // 000000005938: 800C420C
	v_mfma_scale_f32_16x16x128_f8f6f4 a[48:51], v[128:131], v[64:67], a[48:51], v175, v171 op_sel_hi:[0,0,0] cbsz:4 blgp:4// 00000000593C: D3AC6000 180357AF D3AD8C30 84C28180
	s_addc_u32 s13, 0, s13                                     // 00000000594C: 820D0D80
	buffer_load_dwordx4 v[76:79], v186, s[16:19], 0 offen      // 000000005950: E05C1000 80044CBA
	v_mfma_scale_f32_16x16x128_f8f6f4 a[52:55], v[128:131], v[68:71], a[52:55], v175, v171 op_sel_hi:[0,0,0] cbsz:4 blgp:4// 000000005958: D3AC7000 180357AF D3AD8C34 84D28980
	s_sub_u32 s14, s14, s66                                    // 000000005968: 808E420E
	s_add_u32 s20, s20, s68                                    // 00000000596C: 80144414
	v_mfma_scale_f32_16x16x128_f8f6f4 a[56:59], v[132:135], v[64:67], a[56:59], v175, v171 op_sel_hi:[0,0,0] cbsz:4 blgp:4// 000000005970: D3AC6800 180357AF D3AD8C38 84E28184
	s_addc_u32 s21, 0, s21                                     // 000000005980: 82151580
	buffer_load_dwordx4 v[80:83], v185, s[16:19], 0 offen offset:1024// 000000005984: E05C1400 800450B9
	v_mfma_scale_f32_16x16x128_f8f6f4 a[60:63], v[132:135], v[68:71], a[60:63], v175, v171 op_sel_hi:[0,0,0] cbsz:4 blgp:4// 00000000598C: D3AC7800 180357AF D3AD8C3C 84F28984
	s_sub_u32 s22, s22, s68                                    // 00000000599C: 80964416
	buffer_load_dwordx4 v[84:87], v186, s[16:19], 0 offen offset:1024// 0000000059A0: E05C1400 800454BA
	buffer_load_dword v172, v197, s[24:27], 0 offen            // 0000000059A8: E0501000 8006ACC5
	s_waitcnt vmcnt(12)                                        // 0000000059B0: BF8C0F7C
	v_mfma_scale_f32_16x16x128_f8f6f4 a[64:67], v[136:139], v[56:59], a[64:67], v176, v171 op_sel_hi:[0,0,0] cbsz:4 blgp:4// 0000000059B4: D3AC6000 000357B0 D3AD8C40 85027188
	buffer_load_dwordx4 v[88:91], v187, s[16:19], 0 offen      // 0000000059C4: E05C1000 800458BB
	v_mfma_scale_f32_16x16x128_f8f6f4 a[68:71], v[136:139], v[60:63], a[68:71], v176, v171 op_sel_hi:[0,0,0] cbsz:4 blgp:4// 0000000059CC: D3AC7000 000357B0 D3AD8C44 85127988
	v_mfma_scale_f32_16x16x128_f8f6f4 a[72:75], v[140:143], v[56:59], a[72:75], v176, v171 op_sel_hi:[0,0,0] cbsz:4 blgp:4// 0000000059DC: D3AC6800 000357B0 D3AD8C48 8522718C
	buffer_load_dwordx4 v[92:95], v188, s[16:19], 0 offen      // 0000000059EC: E05C1000 80045CBC
	v_mfma_scale_f32_16x16x128_f8f6f4 a[76:79], v[140:143], v[60:63], a[76:79], v176, v171 op_sel_hi:[0,0,0] cbsz:4 blgp:4// 0000000059F4: D3AC7800 000357B0 D3AD8C4C 8532798C
	v_mfma_scale_f32_16x16x128_f8f6f4 a[64:67], v[144:147], v[64:67], a[64:67], v176, v171 op_sel_hi:[0,0,0] cbsz:4 blgp:4// 000000005A04: D3AC6000 180357B0 D3AD8C40 85028190
	buffer_load_dwordx4 v[96:99], v187, s[16:19], 0 offen offset:1024// 000000005A14: E05C1400 800460BB
	v_mfma_scale_f32_16x16x128_f8f6f4 a[68:71], v[144:147], v[68:71], a[68:71], v176, v171 op_sel_hi:[0,0,0] cbsz:4 blgp:4// 000000005A1C: D3AC7000 180357B0 D3AD8C44 85128990
	v_mfma_scale_f32_16x16x128_f8f6f4 a[72:75], v[148:151], v[64:67], a[72:75], v176, v171 op_sel_hi:[0,0,0] cbsz:4 blgp:4// 000000005A2C: D3AC6800 180357B0 D3AD8C48 85228194
	buffer_load_dwordx4 v[100:103], v188, s[16:19], 0 offen offset:1024// 000000005A3C: E05C1400 800464BC
	v_mfma_scale_f32_16x16x128_f8f6f4 a[76:79], v[148:151], v[68:71], a[76:79], v176, v171 op_sel_hi:[0,0,0] cbsz:4 blgp:4// 000000005A44: D3AC7800 180357B0 D3AD8C4C 85328994
	buffer_load_dword v173, v198, s[24:27], 0 offen            // 000000005A54: E0501000 8006ADC6
	s_waitcnt vmcnt(10)                                        // 000000005A5C: BF8C0F7A
	s_barrier                                                  // 000000005A60: BF8A0000
	v_mfma_scale_f32_16x16x128_f8f6f4 a[80:83], v[152:155], v[56:59], a[80:83], v177, v171 op_sel_hi:[0,0,0] cbsz:4 blgp:4// 000000005A64: D3AC6000 000357B1 D3AD8C50 85427198
	s_addk_i32 s60, 0x100                                      // 000000005A74: B73C0100
	buffer_load_dwordx4 v[104:107], v189, s[16:19], 0 offen    // 000000005A78: E05C1000 800468BD
	v_mfma_scale_f32_16x16x128_f8f6f4 a[84:87], v[152:155], v[60:63], a[84:87], v177, v171 op_sel_hi:[0,0,0] cbsz:4 blgp:4// 000000005A80: D3AC7000 000357B1 D3AD8C54 85527998
	s_cmp_lt_i32 s60, s61                                      // 000000005A90: BF043D3C
	ds_read_b128 v[24:27], v180                                // 000000005A94: D9FE0000 180000B4
	v_mfma_scale_f32_16x16x128_f8f6f4 a[88:91], v[156:159], v[56:59], a[88:91], v177, v171 op_sel_hi:[0,0,0] cbsz:4 blgp:4// 000000005A9C: D3AC6800 000357B1 D3AD8C58 8562719C
	buffer_load_dwordx4 v[108:111], v190, s[16:19], 0 offen    // 000000005AAC: E05C1000 80046CBE
	v_mfma_scale_f32_16x16x128_f8f6f4 a[92:95], v[156:159], v[60:63], a[92:95], v177, v171 op_sel_hi:[0,0,0] cbsz:4 blgp:4// 000000005AB4: D3AC7800 000357B1 D3AD8C5C 8572799C
	ds_read_b128 v[32:35], v180 offset:64                      // 000000005AC4: D9FE0040 200000B4
	v_mfma_scale_f32_16x16x128_f8f6f4 a[80:83], v[160:163], v[64:67], a[80:83], v177, v171 op_sel_hi:[0,0,0] cbsz:4 blgp:4// 000000005ACC: D3AC6000 180357B1 D3AD8C50 854281A0
	buffer_load_dwordx4 v[112:115], v189, s[16:19], 0 offen offset:1024// 000000005ADC: E05C1400 800470BD
	v_mfma_scale_f32_16x16x128_f8f6f4 a[84:87], v[160:163], v[68:71], a[84:87], v177, v171 op_sel_hi:[0,0,0] cbsz:4 blgp:4// 000000005AE4: D3AC7000 180357B1 D3AD8C54 855289A0
	ds_read_b128 v[28:31], v180 offset:512                     // 000000005AF4: D9FE0200 1C0000B4
	v_mfma_scale_f32_16x16x128_f8f6f4 a[88:91], v[164:167], v[64:67], a[88:91], v177, v171 op_sel_hi:[0,0,0] cbsz:4 blgp:4// 000000005AFC: D3AC6800 180357B1 D3AD8C58 856281A4
	buffer_load_dwordx4 v[116:119], v190, s[16:19], 0 offen offset:1024// 000000005B0C: E05C1400 800474BE
	v_mfma_scale_f32_16x16x128_f8f6f4 a[92:95], v[164:167], v[68:71], a[92:95], v177, v171 op_sel_hi:[0,0,0] cbsz:4 blgp:4// 000000005B14: D3AC7800 180357B1 D3AD8C5C 857289A4
	ds_read_b128 v[36:39], v180 offset:576                     // 000000005B24: D9FE0240 240000B4
	ds_read_b32 v169, v184 offset:1024                         // 000000005B2C: D86C0400 A90000B8
	buffer_load_dword v174, v199, s[24:27], 0 offen            // 000000005B34: E0501000 8006AEC7
	s_cbranch_scc0 label_0BD1                                  // 000000005B3C: BF840001
	s_branch label_071A                                        // 000000005B40: BF82FB49

0000000000005b44 <label_0BD1>:
	s_waitcnt lgkmcnt(0)                                       // 000000005B44: BF8CC07F
	s_mul_i32 s62, s47, 0x300                                  // 000000005B48: 923EFF2F 00000300
	s_mul_i32 s63, s46, 0xc0                                   // 000000005B50: 923FFF2E 000000C0
	s_add_u32 s60, s62, s63                                    // 000000005B58: 803C3F3E
	s_add_u32 s62, s60, 0xc0                                   // 000000005B5C: 803EFF3C 000000C0
	s_cmp_lt_i32 s44, s62                                      // 000000005B64: BF043E2C
	s_cbranch_scc1 label_0D67                                  // 000000005B68: BF85018C
	s_mul_i32 s62, s36, 16                                     // 000000005B6C: 923E9024
	v_add_u32_e32 v207, 0, v203                                // 000000005B70: 699F9680
	v_accvgpr_read_b32 v8, a0                                  // 000000005B74: D3D84008 18000100
	v_accvgpr_read_b32 v9, a1                                  // 000000005B7C: D3D84009 18000101
	v_accvgpr_read_b32 v10, a2                                 // 000000005B84: D3D8400A 18000102
	v_accvgpr_read_b32 v11, a3                                 // 000000005B8C: D3D8400B 18000103
	v_accvgpr_read_b32 v12, a8                                 // 000000005B94: D3D8400C 18000108
	v_accvgpr_read_b32 v13, a9                                 // 000000005B9C: D3D8400D 18000109
	v_accvgpr_read_b32 v14, a10                                // 000000005BA4: D3D8400E 1800010A
	v_accvgpr_read_b32 v15, a11                                // 000000005BAC: D3D8400F 1800010B
	v_cvt_pk_bf16_f32 v16, v8, v9                              // 000000005BB4: D2680010 00021308
	v_cvt_pk_bf16_f32 v17, v10, v11                            // 000000005BBC: D2680011 0002170A
	v_cvt_pk_bf16_f32 v18, v12, v13                            // 000000005BC4: D2680012 00021B0C
	v_cvt_pk_bf16_f32 v19, v14, v15                            // 000000005BCC: D2680013 00021F0E
	s_nop 1                                                    // 000000005BD4: BF800001
	v_permlane16_swap_b32_e32 v16, v18                         // 000000005BD8: 7E20B312
	s_nop 1                                                    // 000000005BDC: BF800001
	v_permlane16_swap_b32_e32 v17, v19                         // 000000005BE0: 7E22B313
	s_nop 1                                                    // 000000005BE4: BF800001
	buffer_store_dwordx4 v[16:19], v207, s[4:7], 0 offen       // 000000005BE8: E07C1000 800110CF
	v_add_u32_e32 v207, s62, v207                              // 000000005BF0: 699F9E3E
	v_accvgpr_read_b32 v8, a4                                  // 000000005BF4: D3D84008 18000104
	v_accvgpr_read_b32 v9, a5                                  // 000000005BFC: D3D84009 18000105
	v_accvgpr_read_b32 v10, a6                                 // 000000005C04: D3D8400A 18000106
	v_accvgpr_read_b32 v11, a7                                 // 000000005C0C: D3D8400B 18000107
	v_accvgpr_read_b32 v12, a12                                // 000000005C14: D3D8400C 1800010C
	v_accvgpr_read_b32 v13, a13                                // 000000005C1C: D3D8400D 1800010D
	v_accvgpr_read_b32 v14, a14                                // 000000005C24: D3D8400E 1800010E
	v_accvgpr_read_b32 v15, a15                                // 000000005C2C: D3D8400F 1800010F
	v_cvt_pk_bf16_f32 v16, v8, v9                              // 000000005C34: D2680010 00021308
	v_cvt_pk_bf16_f32 v17, v10, v11                            // 000000005C3C: D2680011 0002170A
	v_cvt_pk_bf16_f32 v18, v12, v13                            // 000000005C44: D2680012 00021B0C
	v_cvt_pk_bf16_f32 v19, v14, v15                            // 000000005C4C: D2680013 00021F0E
	s_nop 1                                                    // 000000005C54: BF800001
	v_permlane16_swap_b32_e32 v16, v18                         // 000000005C58: 7E20B312
	s_nop 1                                                    // 000000005C5C: BF800001
	v_permlane16_swap_b32_e32 v17, v19                         // 000000005C60: 7E22B313
	s_nop 1                                                    // 000000005C64: BF800001
	buffer_store_dwordx4 v[16:19], v207, s[4:7], 0 offen       // 000000005C68: E07C1000 800110CF
	v_add_u32_e32 v207, s62, v207                              // 000000005C70: 699F9E3E
	v_add_u32_e32 v207, 64, v203                               // 000000005C74: 699F96C0
	v_accvgpr_read_b32 v8, a16                                 // 000000005C78: D3D84008 18000110
	v_accvgpr_read_b32 v9, a17                                 // 000000005C80: D3D84009 18000111
	v_accvgpr_read_b32 v10, a18                                // 000000005C88: D3D8400A 18000112
	v_accvgpr_read_b32 v11, a19                                // 000000005C90: D3D8400B 18000113
	v_accvgpr_read_b32 v12, a24                                // 000000005C98: D3D8400C 18000118
	v_accvgpr_read_b32 v13, a25                                // 000000005CA0: D3D8400D 18000119
	v_accvgpr_read_b32 v14, a26                                // 000000005CA8: D3D8400E 1800011A
	v_accvgpr_read_b32 v15, a27                                // 000000005CB0: D3D8400F 1800011B
	v_cvt_pk_bf16_f32 v16, v8, v9                              // 000000005CB8: D2680010 00021308
	v_cvt_pk_bf16_f32 v17, v10, v11                            // 000000005CC0: D2680011 0002170A
	v_cvt_pk_bf16_f32 v18, v12, v13                            // 000000005CC8: D2680012 00021B0C
	v_cvt_pk_bf16_f32 v19, v14, v15                            // 000000005CD0: D2680013 00021F0E
	s_nop 1                                                    // 000000005CD8: BF800001
	v_permlane16_swap_b32_e32 v16, v18                         // 000000005CDC: 7E20B312
	s_nop 1                                                    // 000000005CE0: BF800001
	v_permlane16_swap_b32_e32 v17, v19                         // 000000005CE4: 7E22B313
	s_nop 1                                                    // 000000005CE8: BF800001
	buffer_store_dwordx4 v[16:19], v207, s[4:7], 0 offen       // 000000005CEC: E07C1000 800110CF
	v_add_u32_e32 v207, s62, v207                              // 000000005CF4: 699F9E3E
	v_accvgpr_read_b32 v8, a20                                 // 000000005CF8: D3D84008 18000114
	v_accvgpr_read_b32 v9, a21                                 // 000000005D00: D3D84009 18000115
	v_accvgpr_read_b32 v10, a22                                // 000000005D08: D3D8400A 18000116
	v_accvgpr_read_b32 v11, a23                                // 000000005D10: D3D8400B 18000117
	v_accvgpr_read_b32 v12, a28                                // 000000005D18: D3D8400C 1800011C
	v_accvgpr_read_b32 v13, a29                                // 000000005D20: D3D8400D 1800011D
	v_accvgpr_read_b32 v14, a30                                // 000000005D28: D3D8400E 1800011E
	v_accvgpr_read_b32 v15, a31                                // 000000005D30: D3D8400F 1800011F
	v_cvt_pk_bf16_f32 v16, v8, v9                              // 000000005D38: D2680010 00021308
	v_cvt_pk_bf16_f32 v17, v10, v11                            // 000000005D40: D2680011 0002170A
	v_cvt_pk_bf16_f32 v18, v12, v13                            // 000000005D48: D2680012 00021B0C
	v_cvt_pk_bf16_f32 v19, v14, v15                            // 000000005D50: D2680013 00021F0E
	s_nop 1                                                    // 000000005D58: BF800001
	v_permlane16_swap_b32_e32 v16, v18                         // 000000005D5C: 7E20B312
	s_nop 1                                                    // 000000005D60: BF800001
	v_permlane16_swap_b32_e32 v17, v19                         // 000000005D64: 7E22B313
	s_nop 1                                                    // 000000005D68: BF800001
	buffer_store_dwordx4 v[16:19], v207, s[4:7], 0 offen       // 000000005D6C: E07C1000 800110CF
	v_add_u32_e32 v207, s62, v207                              // 000000005D74: 699F9E3E
	v_add_u32_e32 v207, 0x80, v203                             // 000000005D78: 699F96FF 00000080
	v_accvgpr_read_b32 v8, a32                                 // 000000005D80: D3D84008 18000120
	v_accvgpr_read_b32 v9, a33                                 // 000000005D88: D3D84009 18000121
	v_accvgpr_read_b32 v10, a34                                // 000000005D90: D3D8400A 18000122
	v_accvgpr_read_b32 v11, a35                                // 000000005D98: D3D8400B 18000123
	v_accvgpr_read_b32 v12, a40                                // 000000005DA0: D3D8400C 18000128
	v_accvgpr_read_b32 v13, a41                                // 000000005DA8: D3D8400D 18000129
	v_accvgpr_read_b32 v14, a42                                // 000000005DB0: D3D8400E 1800012A
	v_accvgpr_read_b32 v15, a43                                // 000000005DB8: D3D8400F 1800012B
	v_cvt_pk_bf16_f32 v16, v8, v9                              // 000000005DC0: D2680010 00021308
	v_cvt_pk_bf16_f32 v17, v10, v11                            // 000000005DC8: D2680011 0002170A
	v_cvt_pk_bf16_f32 v18, v12, v13                            // 000000005DD0: D2680012 00021B0C
	v_cvt_pk_bf16_f32 v19, v14, v15                            // 000000005DD8: D2680013 00021F0E
	s_nop 1                                                    // 000000005DE0: BF800001
	v_permlane16_swap_b32_e32 v16, v18                         // 000000005DE4: 7E20B312
	s_nop 1                                                    // 000000005DE8: BF800001
	v_permlane16_swap_b32_e32 v17, v19                         // 000000005DEC: 7E22B313
	s_nop 1                                                    // 000000005DF0: BF800001
	buffer_store_dwordx4 v[16:19], v207, s[4:7], 0 offen       // 000000005DF4: E07C1000 800110CF
	v_add_u32_e32 v207, s62, v207                              // 000000005DFC: 699F9E3E
	v_accvgpr_read_b32 v8, a36                                 // 000000005E00: D3D84008 18000124
	v_accvgpr_read_b32 v9, a37                                 // 000000005E08: D3D84009 18000125
	v_accvgpr_read_b32 v10, a38                                // 000000005E10: D3D8400A 18000126
	v_accvgpr_read_b32 v11, a39                                // 000000005E18: D3D8400B 18000127
	v_accvgpr_read_b32 v12, a44                                // 000000005E20: D3D8400C 1800012C
	v_accvgpr_read_b32 v13, a45                                // 000000005E28: D3D8400D 1800012D
	v_accvgpr_read_b32 v14, a46                                // 000000005E30: D3D8400E 1800012E
	v_accvgpr_read_b32 v15, a47                                // 000000005E38: D3D8400F 1800012F
	v_cvt_pk_bf16_f32 v16, v8, v9                              // 000000005E40: D2680010 00021308
	v_cvt_pk_bf16_f32 v17, v10, v11                            // 000000005E48: D2680011 0002170A
	v_cvt_pk_bf16_f32 v18, v12, v13                            // 000000005E50: D2680012 00021B0C
	v_cvt_pk_bf16_f32 v19, v14, v15                            // 000000005E58: D2680013 00021F0E
	s_nop 1                                                    // 000000005E60: BF800001
	v_permlane16_swap_b32_e32 v16, v18                         // 000000005E64: 7E20B312
	s_nop 1                                                    // 000000005E68: BF800001
	v_permlane16_swap_b32_e32 v17, v19                         // 000000005E6C: 7E22B313
	s_nop 1                                                    // 000000005E70: BF800001
	buffer_store_dwordx4 v[16:19], v207, s[4:7], 0 offen       // 000000005E74: E07C1000 800110CF
	v_add_u32_e32 v207, s62, v207                              // 000000005E7C: 699F9E3E
	v_add_u32_e32 v207, 0xc0, v203                             // 000000005E80: 699F96FF 000000C0
	v_accvgpr_read_b32 v8, a48                                 // 000000005E88: D3D84008 18000130
	v_accvgpr_read_b32 v9, a49                                 // 000000005E90: D3D84009 18000131
	v_accvgpr_read_b32 v10, a50                                // 000000005E98: D3D8400A 18000132
	v_accvgpr_read_b32 v11, a51                                // 000000005EA0: D3D8400B 18000133
	v_accvgpr_read_b32 v12, a56                                // 000000005EA8: D3D8400C 18000138
	v_accvgpr_read_b32 v13, a57                                // 000000005EB0: D3D8400D 18000139
	v_accvgpr_read_b32 v14, a58                                // 000000005EB8: D3D8400E 1800013A
	v_accvgpr_read_b32 v15, a59                                // 000000005EC0: D3D8400F 1800013B
	v_cvt_pk_bf16_f32 v16, v8, v9                              // 000000005EC8: D2680010 00021308
	v_cvt_pk_bf16_f32 v17, v10, v11                            // 000000005ED0: D2680011 0002170A
	v_cvt_pk_bf16_f32 v18, v12, v13                            // 000000005ED8: D2680012 00021B0C
	v_cvt_pk_bf16_f32 v19, v14, v15                            // 000000005EE0: D2680013 00021F0E
	s_nop 1                                                    // 000000005EE8: BF800001
	v_permlane16_swap_b32_e32 v16, v18                         // 000000005EEC: 7E20B312
	s_nop 1                                                    // 000000005EF0: BF800001
	v_permlane16_swap_b32_e32 v17, v19                         // 000000005EF4: 7E22B313
	s_nop 1                                                    // 000000005EF8: BF800001
	buffer_store_dwordx4 v[16:19], v207, s[4:7], 0 offen       // 000000005EFC: E07C1000 800110CF
	v_add_u32_e32 v207, s62, v207                              // 000000005F04: 699F9E3E
	v_accvgpr_read_b32 v8, a52                                 // 000000005F08: D3D84008 18000134
	v_accvgpr_read_b32 v9, a53                                 // 000000005F10: D3D84009 18000135
	v_accvgpr_read_b32 v10, a54                                // 000000005F18: D3D8400A 18000136
	v_accvgpr_read_b32 v11, a55                                // 000000005F20: D3D8400B 18000137
	v_accvgpr_read_b32 v12, a60                                // 000000005F28: D3D8400C 1800013C
	v_accvgpr_read_b32 v13, a61                                // 000000005F30: D3D8400D 1800013D
	v_accvgpr_read_b32 v14, a62                                // 000000005F38: D3D8400E 1800013E
	v_accvgpr_read_b32 v15, a63                                // 000000005F40: D3D8400F 1800013F
	v_cvt_pk_bf16_f32 v16, v8, v9                              // 000000005F48: D2680010 00021308
	v_cvt_pk_bf16_f32 v17, v10, v11                            // 000000005F50: D2680011 0002170A
	v_cvt_pk_bf16_f32 v18, v12, v13                            // 000000005F58: D2680012 00021B0C
	v_cvt_pk_bf16_f32 v19, v14, v15                            // 000000005F60: D2680013 00021F0E
	s_nop 1                                                    // 000000005F68: BF800001
	v_permlane16_swap_b32_e32 v16, v18                         // 000000005F6C: 7E20B312
	s_nop 1                                                    // 000000005F70: BF800001
	v_permlane16_swap_b32_e32 v17, v19                         // 000000005F74: 7E22B313
	s_nop 1                                                    // 000000005F78: BF800001
	buffer_store_dwordx4 v[16:19], v207, s[4:7], 0 offen       // 000000005F7C: E07C1000 800110CF
	v_add_u32_e32 v207, s62, v207                              // 000000005F84: 699F9E3E
	v_add_u32_e32 v207, 0x100, v203                            // 000000005F88: 699F96FF 00000100
	v_accvgpr_read_b32 v8, a64                                 // 000000005F90: D3D84008 18000140
	v_accvgpr_read_b32 v9, a65                                 // 000000005F98: D3D84009 18000141
	v_accvgpr_read_b32 v10, a66                                // 000000005FA0: D3D8400A 18000142
	v_accvgpr_read_b32 v11, a67                                // 000000005FA8: D3D8400B 18000143
	v_accvgpr_read_b32 v12, a72                                // 000000005FB0: D3D8400C 18000148
	v_accvgpr_read_b32 v13, a73                                // 000000005FB8: D3D8400D 18000149
	v_accvgpr_read_b32 v14, a74                                // 000000005FC0: D3D8400E 1800014A
	v_accvgpr_read_b32 v15, a75                                // 000000005FC8: D3D8400F 1800014B
	v_cvt_pk_bf16_f32 v16, v8, v9                              // 000000005FD0: D2680010 00021308
	v_cvt_pk_bf16_f32 v17, v10, v11                            // 000000005FD8: D2680011 0002170A
	v_cvt_pk_bf16_f32 v18, v12, v13                            // 000000005FE0: D2680012 00021B0C
	v_cvt_pk_bf16_f32 v19, v14, v15                            // 000000005FE8: D2680013 00021F0E
	s_nop 1                                                    // 000000005FF0: BF800001
	v_permlane16_swap_b32_e32 v16, v18                         // 000000005FF4: 7E20B312
	s_nop 1                                                    // 000000005FF8: BF800001
	v_permlane16_swap_b32_e32 v17, v19                         // 000000005FFC: 7E22B313
	s_nop 1                                                    // 000000006000: BF800001
	buffer_store_dwordx4 v[16:19], v207, s[4:7], 0 offen       // 000000006004: E07C1000 800110CF
	v_add_u32_e32 v207, s62, v207                              // 00000000600C: 699F9E3E
	v_accvgpr_read_b32 v8, a68                                 // 000000006010: D3D84008 18000144
	v_accvgpr_read_b32 v9, a69                                 // 000000006018: D3D84009 18000145
	v_accvgpr_read_b32 v10, a70                                // 000000006020: D3D8400A 18000146
	v_accvgpr_read_b32 v11, a71                                // 000000006028: D3D8400B 18000147
	v_accvgpr_read_b32 v12, a76                                // 000000006030: D3D8400C 1800014C
	v_accvgpr_read_b32 v13, a77                                // 000000006038: D3D8400D 1800014D
	v_accvgpr_read_b32 v14, a78                                // 000000006040: D3D8400E 1800014E
	v_accvgpr_read_b32 v15, a79                                // 000000006048: D3D8400F 1800014F
	v_cvt_pk_bf16_f32 v16, v8, v9                              // 000000006050: D2680010 00021308
	v_cvt_pk_bf16_f32 v17, v10, v11                            // 000000006058: D2680011 0002170A
	v_cvt_pk_bf16_f32 v18, v12, v13                            // 000000006060: D2680012 00021B0C
	v_cvt_pk_bf16_f32 v19, v14, v15                            // 000000006068: D2680013 00021F0E
	s_nop 1                                                    // 000000006070: BF800001
	v_permlane16_swap_b32_e32 v16, v18                         // 000000006074: 7E20B312
	s_nop 1                                                    // 000000006078: BF800001
	v_permlane16_swap_b32_e32 v17, v19                         // 00000000607C: 7E22B313
	s_nop 1                                                    // 000000006080: BF800001
	buffer_store_dwordx4 v[16:19], v207, s[4:7], 0 offen       // 000000006084: E07C1000 800110CF
	v_add_u32_e32 v207, s62, v207                              // 00000000608C: 699F9E3E
	v_add_u32_e32 v207, 0x140, v203                            // 000000006090: 699F96FF 00000140
	v_accvgpr_read_b32 v8, a80                                 // 000000006098: D3D84008 18000150
	v_accvgpr_read_b32 v9, a81                                 // 0000000060A0: D3D84009 18000151
	v_accvgpr_read_b32 v10, a82                                // 0000000060A8: D3D8400A 18000152
	v_accvgpr_read_b32 v11, a83                                // 0000000060B0: D3D8400B 18000153
	v_accvgpr_read_b32 v12, a88                                // 0000000060B8: D3D8400C 18000158
	v_accvgpr_read_b32 v13, a89                                // 0000000060C0: D3D8400D 18000159
	v_accvgpr_read_b32 v14, a90                                // 0000000060C8: D3D8400E 1800015A
	v_accvgpr_read_b32 v15, a91                                // 0000000060D0: D3D8400F 1800015B
	v_cvt_pk_bf16_f32 v16, v8, v9                              // 0000000060D8: D2680010 00021308
	v_cvt_pk_bf16_f32 v17, v10, v11                            // 0000000060E0: D2680011 0002170A
	v_cvt_pk_bf16_f32 v18, v12, v13                            // 0000000060E8: D2680012 00021B0C
	v_cvt_pk_bf16_f32 v19, v14, v15                            // 0000000060F0: D2680013 00021F0E
	s_nop 1                                                    // 0000000060F8: BF800001
	v_permlane16_swap_b32_e32 v16, v18                         // 0000000060FC: 7E20B312
	s_nop 1                                                    // 000000006100: BF800001
	v_permlane16_swap_b32_e32 v17, v19                         // 000000006104: 7E22B313
	s_nop 1                                                    // 000000006108: BF800001
	buffer_store_dwordx4 v[16:19], v207, s[4:7], 0 offen       // 00000000610C: E07C1000 800110CF
	v_add_u32_e32 v207, s62, v207                              // 000000006114: 699F9E3E
	v_accvgpr_read_b32 v8, a84                                 // 000000006118: D3D84008 18000154
	v_accvgpr_read_b32 v9, a85                                 // 000000006120: D3D84009 18000155
	v_accvgpr_read_b32 v10, a86                                // 000000006128: D3D8400A 18000156
	v_accvgpr_read_b32 v11, a87                                // 000000006130: D3D8400B 18000157
	v_accvgpr_read_b32 v12, a92                                // 000000006138: D3D8400C 1800015C
	v_accvgpr_read_b32 v13, a93                                // 000000006140: D3D8400D 1800015D
	v_accvgpr_read_b32 v14, a94                                // 000000006148: D3D8400E 1800015E
	v_accvgpr_read_b32 v15, a95                                // 000000006150: D3D8400F 1800015F
	v_cvt_pk_bf16_f32 v16, v8, v9                              // 000000006158: D2680010 00021308
	v_cvt_pk_bf16_f32 v17, v10, v11                            // 000000006160: D2680011 0002170A
	v_cvt_pk_bf16_f32 v18, v12, v13                            // 000000006168: D2680012 00021B0C
	v_cvt_pk_bf16_f32 v19, v14, v15                            // 000000006170: D2680013 00021F0E
	s_nop 1                                                    // 000000006178: BF800001
	v_permlane16_swap_b32_e32 v16, v18                         // 00000000617C: 7E20B312
	s_nop 1                                                    // 000000006180: BF800001
	v_permlane16_swap_b32_e32 v17, v19                         // 000000006184: 7E22B313
	s_nop 1                                                    // 000000006188: BF800001
	buffer_store_dwordx4 v[16:19], v207, s[4:7], 0 offen       // 00000000618C: E07C1000 800110CF
	v_add_u32_e32 v207, s62, v207                              // 000000006194: 699F9E3E
	s_branch label_0F04                                        // 000000006198: BF82019D

000000000000619c <label_0D67>:
	s_mul_i32 s62, s36, 16                                     // 00000000619C: 923E9024
	s_cmp_lt_i32 s60, s44                                      // 0000000061A0: BF042C3C
	s_cbranch_scc0 label_0F04                                  // 0000000061A4: BF84019A
	s_addk_i32 s60, 0x20                                       // 0000000061A8: B73C0020
	v_add_u32_e32 v207, 0, v203                                // 0000000061AC: 699F9680
	v_accvgpr_read_b32 v8, a0                                  // 0000000061B0: D3D84008 18000100
	v_accvgpr_read_b32 v9, a1                                  // 0000000061B8: D3D84009 18000101
	v_accvgpr_read_b32 v10, a2                                 // 0000000061C0: D3D8400A 18000102
	v_accvgpr_read_b32 v11, a3                                 // 0000000061C8: D3D8400B 18000103
	v_accvgpr_read_b32 v12, a8                                 // 0000000061D0: D3D8400C 18000108
	v_accvgpr_read_b32 v13, a9                                 // 0000000061D8: D3D8400D 18000109
	v_accvgpr_read_b32 v14, a10                                // 0000000061E0: D3D8400E 1800010A
	v_accvgpr_read_b32 v15, a11                                // 0000000061E8: D3D8400F 1800010B
	v_cvt_pk_bf16_f32 v16, v8, v9                              // 0000000061F0: D2680010 00021308
	v_cvt_pk_bf16_f32 v17, v10, v11                            // 0000000061F8: D2680011 0002170A
	v_cvt_pk_bf16_f32 v18, v12, v13                            // 000000006200: D2680012 00021B0C
	v_cvt_pk_bf16_f32 v19, v14, v15                            // 000000006208: D2680013 00021F0E
	s_nop 1                                                    // 000000006210: BF800001
	v_permlane16_swap_b32_e32 v16, v18                         // 000000006214: 7E20B312
	s_nop 1                                                    // 000000006218: BF800001
	v_permlane16_swap_b32_e32 v17, v19                         // 00000000621C: 7E22B313
	s_nop 1                                                    // 000000006220: BF800001
	buffer_store_dwordx4 v[16:19], v207, s[4:7], 0 offen       // 000000006224: E07C1000 800110CF
	v_add_u32_e32 v207, s62, v207                              // 00000000622C: 699F9E3E
	v_accvgpr_read_b32 v8, a4                                  // 000000006230: D3D84008 18000104
	v_accvgpr_read_b32 v9, a5                                  // 000000006238: D3D84009 18000105
	v_accvgpr_read_b32 v10, a6                                 // 000000006240: D3D8400A 18000106
	v_accvgpr_read_b32 v11, a7                                 // 000000006248: D3D8400B 18000107
	v_accvgpr_read_b32 v12, a12                                // 000000006250: D3D8400C 1800010C
	v_accvgpr_read_b32 v13, a13                                // 000000006258: D3D8400D 1800010D
	v_accvgpr_read_b32 v14, a14                                // 000000006260: D3D8400E 1800010E
	v_accvgpr_read_b32 v15, a15                                // 000000006268: D3D8400F 1800010F
	v_cvt_pk_bf16_f32 v16, v8, v9                              // 000000006270: D2680010 00021308
	v_cvt_pk_bf16_f32 v17, v10, v11                            // 000000006278: D2680011 0002170A
	v_cvt_pk_bf16_f32 v18, v12, v13                            // 000000006280: D2680012 00021B0C
	v_cvt_pk_bf16_f32 v19, v14, v15                            // 000000006288: D2680013 00021F0E
	s_nop 1                                                    // 000000006290: BF800001
	v_permlane16_swap_b32_e32 v16, v18                         // 000000006294: 7E20B312
	s_nop 1                                                    // 000000006298: BF800001
	v_permlane16_swap_b32_e32 v17, v19                         // 00000000629C: 7E22B313
	s_nop 1                                                    // 0000000062A0: BF800001
	buffer_store_dwordx4 v[16:19], v207, s[4:7], 0 offen       // 0000000062A4: E07C1000 800110CF
	v_add_u32_e32 v207, s62, v207                              // 0000000062AC: 699F9E3E
	s_cmp_lt_i32 s60, s44                                      // 0000000062B0: BF042C3C
	s_cbranch_scc0 label_0F04                                  // 0000000062B4: BF840156
	s_addk_i32 s60, 0x20                                       // 0000000062B8: B73C0020
	v_add_u32_e32 v207, 64, v203                               // 0000000062BC: 699F96C0
	v_accvgpr_read_b32 v8, a16                                 // 0000000062C0: D3D84008 18000110
	v_accvgpr_read_b32 v9, a17                                 // 0000000062C8: D3D84009 18000111
	v_accvgpr_read_b32 v10, a18                                // 0000000062D0: D3D8400A 18000112
	v_accvgpr_read_b32 v11, a19                                // 0000000062D8: D3D8400B 18000113
	v_accvgpr_read_b32 v12, a24                                // 0000000062E0: D3D8400C 18000118
	v_accvgpr_read_b32 v13, a25                                // 0000000062E8: D3D8400D 18000119
	v_accvgpr_read_b32 v14, a26                                // 0000000062F0: D3D8400E 1800011A
	v_accvgpr_read_b32 v15, a27                                // 0000000062F8: D3D8400F 1800011B
	v_cvt_pk_bf16_f32 v16, v8, v9                              // 000000006300: D2680010 00021308
	v_cvt_pk_bf16_f32 v17, v10, v11                            // 000000006308: D2680011 0002170A
	v_cvt_pk_bf16_f32 v18, v12, v13                            // 000000006310: D2680012 00021B0C
	v_cvt_pk_bf16_f32 v19, v14, v15                            // 000000006318: D2680013 00021F0E
	s_nop 1                                                    // 000000006320: BF800001
	v_permlane16_swap_b32_e32 v16, v18                         // 000000006324: 7E20B312
	s_nop 1                                                    // 000000006328: BF800001
	v_permlane16_swap_b32_e32 v17, v19                         // 00000000632C: 7E22B313
	s_nop 1                                                    // 000000006330: BF800001
	buffer_store_dwordx4 v[16:19], v207, s[4:7], 0 offen       // 000000006334: E07C1000 800110CF
	v_add_u32_e32 v207, s62, v207                              // 00000000633C: 699F9E3E
	v_accvgpr_read_b32 v8, a20                                 // 000000006340: D3D84008 18000114
	v_accvgpr_read_b32 v9, a21                                 // 000000006348: D3D84009 18000115
	v_accvgpr_read_b32 v10, a22                                // 000000006350: D3D8400A 18000116
	v_accvgpr_read_b32 v11, a23                                // 000000006358: D3D8400B 18000117
	v_accvgpr_read_b32 v12, a28                                // 000000006360: D3D8400C 1800011C
	v_accvgpr_read_b32 v13, a29                                // 000000006368: D3D8400D 1800011D
	v_accvgpr_read_b32 v14, a30                                // 000000006370: D3D8400E 1800011E
	v_accvgpr_read_b32 v15, a31                                // 000000006378: D3D8400F 1800011F
	v_cvt_pk_bf16_f32 v16, v8, v9                              // 000000006380: D2680010 00021308
	v_cvt_pk_bf16_f32 v17, v10, v11                            // 000000006388: D2680011 0002170A
	v_cvt_pk_bf16_f32 v18, v12, v13                            // 000000006390: D2680012 00021B0C
	v_cvt_pk_bf16_f32 v19, v14, v15                            // 000000006398: D2680013 00021F0E
	s_nop 1                                                    // 0000000063A0: BF800001
	v_permlane16_swap_b32_e32 v16, v18                         // 0000000063A4: 7E20B312
	s_nop 1                                                    // 0000000063A8: BF800001
	v_permlane16_swap_b32_e32 v17, v19                         // 0000000063AC: 7E22B313
	s_nop 1                                                    // 0000000063B0: BF800001
	buffer_store_dwordx4 v[16:19], v207, s[4:7], 0 offen       // 0000000063B4: E07C1000 800110CF
	v_add_u32_e32 v207, s62, v207                              // 0000000063BC: 699F9E3E
	s_cmp_lt_i32 s60, s44                                      // 0000000063C0: BF042C3C
	s_cbranch_scc0 label_0F04                                  // 0000000063C4: BF840112
	s_addk_i32 s60, 0x20                                       // 0000000063C8: B73C0020
	v_add_u32_e32 v207, 0x80, v203                             // 0000000063CC: 699F96FF 00000080
	v_accvgpr_read_b32 v8, a32                                 // 0000000063D4: D3D84008 18000120
	v_accvgpr_read_b32 v9, a33                                 // 0000000063DC: D3D84009 18000121
	v_accvgpr_read_b32 v10, a34                                // 0000000063E4: D3D8400A 18000122
	v_accvgpr_read_b32 v11, a35                                // 0000000063EC: D3D8400B 18000123
	v_accvgpr_read_b32 v12, a40                                // 0000000063F4: D3D8400C 18000128
	v_accvgpr_read_b32 v13, a41                                // 0000000063FC: D3D8400D 18000129
	v_accvgpr_read_b32 v14, a42                                // 000000006404: D3D8400E 1800012A
	v_accvgpr_read_b32 v15, a43                                // 00000000640C: D3D8400F 1800012B
	v_cvt_pk_bf16_f32 v16, v8, v9                              // 000000006414: D2680010 00021308
	v_cvt_pk_bf16_f32 v17, v10, v11                            // 00000000641C: D2680011 0002170A
	v_cvt_pk_bf16_f32 v18, v12, v13                            // 000000006424: D2680012 00021B0C
	v_cvt_pk_bf16_f32 v19, v14, v15                            // 00000000642C: D2680013 00021F0E
	s_nop 1                                                    // 000000006434: BF800001
	v_permlane16_swap_b32_e32 v16, v18                         // 000000006438: 7E20B312
	s_nop 1                                                    // 00000000643C: BF800001
	v_permlane16_swap_b32_e32 v17, v19                         // 000000006440: 7E22B313
	s_nop 1                                                    // 000000006444: BF800001
	buffer_store_dwordx4 v[16:19], v207, s[4:7], 0 offen       // 000000006448: E07C1000 800110CF
	v_add_u32_e32 v207, s62, v207                              // 000000006450: 699F9E3E
	v_accvgpr_read_b32 v8, a36                                 // 000000006454: D3D84008 18000124
	v_accvgpr_read_b32 v9, a37                                 // 00000000645C: D3D84009 18000125
	v_accvgpr_read_b32 v10, a38                                // 000000006464: D3D8400A 18000126
	v_accvgpr_read_b32 v11, a39                                // 00000000646C: D3D8400B 18000127
	v_accvgpr_read_b32 v12, a44                                // 000000006474: D3D8400C 1800012C
	v_accvgpr_read_b32 v13, a45                                // 00000000647C: D3D8400D 1800012D
	v_accvgpr_read_b32 v14, a46                                // 000000006484: D3D8400E 1800012E
	v_accvgpr_read_b32 v15, a47                                // 00000000648C: D3D8400F 1800012F
	v_cvt_pk_bf16_f32 v16, v8, v9                              // 000000006494: D2680010 00021308
	v_cvt_pk_bf16_f32 v17, v10, v11                            // 00000000649C: D2680011 0002170A
	v_cvt_pk_bf16_f32 v18, v12, v13                            // 0000000064A4: D2680012 00021B0C
	v_cvt_pk_bf16_f32 v19, v14, v15                            // 0000000064AC: D2680013 00021F0E
	s_nop 1                                                    // 0000000064B4: BF800001
	v_permlane16_swap_b32_e32 v16, v18                         // 0000000064B8: 7E20B312
	s_nop 1                                                    // 0000000064BC: BF800001
	v_permlane16_swap_b32_e32 v17, v19                         // 0000000064C0: 7E22B313
	s_nop 1                                                    // 0000000064C4: BF800001
	buffer_store_dwordx4 v[16:19], v207, s[4:7], 0 offen       // 0000000064C8: E07C1000 800110CF
	v_add_u32_e32 v207, s62, v207                              // 0000000064D0: 699F9E3E
	s_cmp_lt_i32 s60, s44                                      // 0000000064D4: BF042C3C
	s_cbranch_scc0 label_0F04                                  // 0000000064D8: BF8400CD
	s_addk_i32 s60, 0x20                                       // 0000000064DC: B73C0020
	v_add_u32_e32 v207, 0xc0, v203                             // 0000000064E0: 699F96FF 000000C0
	v_accvgpr_read_b32 v8, a48                                 // 0000000064E8: D3D84008 18000130
	v_accvgpr_read_b32 v9, a49                                 // 0000000064F0: D3D84009 18000131
	v_accvgpr_read_b32 v10, a50                                // 0000000064F8: D3D8400A 18000132
	v_accvgpr_read_b32 v11, a51                                // 000000006500: D3D8400B 18000133
	v_accvgpr_read_b32 v12, a56                                // 000000006508: D3D8400C 18000138
	v_accvgpr_read_b32 v13, a57                                // 000000006510: D3D8400D 18000139
	v_accvgpr_read_b32 v14, a58                                // 000000006518: D3D8400E 1800013A
	v_accvgpr_read_b32 v15, a59                                // 000000006520: D3D8400F 1800013B
	v_cvt_pk_bf16_f32 v16, v8, v9                              // 000000006528: D2680010 00021308
	v_cvt_pk_bf16_f32 v17, v10, v11                            // 000000006530: D2680011 0002170A
	v_cvt_pk_bf16_f32 v18, v12, v13                            // 000000006538: D2680012 00021B0C
	v_cvt_pk_bf16_f32 v19, v14, v15                            // 000000006540: D2680013 00021F0E
	s_nop 1                                                    // 000000006548: BF800001
	v_permlane16_swap_b32_e32 v16, v18                         // 00000000654C: 7E20B312
	s_nop 1                                                    // 000000006550: BF800001
	v_permlane16_swap_b32_e32 v17, v19                         // 000000006554: 7E22B313
	s_nop 1                                                    // 000000006558: BF800001
	buffer_store_dwordx4 v[16:19], v207, s[4:7], 0 offen       // 00000000655C: E07C1000 800110CF
	v_add_u32_e32 v207, s62, v207                              // 000000006564: 699F9E3E
	v_accvgpr_read_b32 v8, a52                                 // 000000006568: D3D84008 18000134
	v_accvgpr_read_b32 v9, a53                                 // 000000006570: D3D84009 18000135
	v_accvgpr_read_b32 v10, a54                                // 000000006578: D3D8400A 18000136
	v_accvgpr_read_b32 v11, a55                                // 000000006580: D3D8400B 18000137
	v_accvgpr_read_b32 v12, a60                                // 000000006588: D3D8400C 1800013C
	v_accvgpr_read_b32 v13, a61                                // 000000006590: D3D8400D 1800013D
	v_accvgpr_read_b32 v14, a62                                // 000000006598: D3D8400E 1800013E
	v_accvgpr_read_b32 v15, a63                                // 0000000065A0: D3D8400F 1800013F
	v_cvt_pk_bf16_f32 v16, v8, v9                              // 0000000065A8: D2680010 00021308
	v_cvt_pk_bf16_f32 v17, v10, v11                            // 0000000065B0: D2680011 0002170A
	v_cvt_pk_bf16_f32 v18, v12, v13                            // 0000000065B8: D2680012 00021B0C
	v_cvt_pk_bf16_f32 v19, v14, v15                            // 0000000065C0: D2680013 00021F0E
	s_nop 1                                                    // 0000000065C8: BF800001
	v_permlane16_swap_b32_e32 v16, v18                         // 0000000065CC: 7E20B312
	s_nop 1                                                    // 0000000065D0: BF800001
	v_permlane16_swap_b32_e32 v17, v19                         // 0000000065D4: 7E22B313
	s_nop 1                                                    // 0000000065D8: BF800001
	buffer_store_dwordx4 v[16:19], v207, s[4:7], 0 offen       // 0000000065DC: E07C1000 800110CF
	v_add_u32_e32 v207, s62, v207                              // 0000000065E4: 699F9E3E
	s_cmp_lt_i32 s60, s44                                      // 0000000065E8: BF042C3C
	s_cbranch_scc0 label_0F04                                  // 0000000065EC: BF840088
	s_addk_i32 s60, 0x20                                       // 0000000065F0: B73C0020
	v_add_u32_e32 v207, 0x100, v203                            // 0000000065F4: 699F96FF 00000100
	v_accvgpr_read_b32 v8, a64                                 // 0000000065FC: D3D84008 18000140
	v_accvgpr_read_b32 v9, a65                                 // 000000006604: D3D84009 18000141
	v_accvgpr_read_b32 v10, a66                                // 00000000660C: D3D8400A 18000142
	v_accvgpr_read_b32 v11, a67                                // 000000006614: D3D8400B 18000143
	v_accvgpr_read_b32 v12, a72                                // 00000000661C: D3D8400C 18000148
	v_accvgpr_read_b32 v13, a73                                // 000000006624: D3D8400D 18000149
	v_accvgpr_read_b32 v14, a74                                // 00000000662C: D3D8400E 1800014A
	v_accvgpr_read_b32 v15, a75                                // 000000006634: D3D8400F 1800014B
	v_cvt_pk_bf16_f32 v16, v8, v9                              // 00000000663C: D2680010 00021308
	v_cvt_pk_bf16_f32 v17, v10, v11                            // 000000006644: D2680011 0002170A
	v_cvt_pk_bf16_f32 v18, v12, v13                            // 00000000664C: D2680012 00021B0C
	v_cvt_pk_bf16_f32 v19, v14, v15                            // 000000006654: D2680013 00021F0E
	s_nop 1                                                    // 00000000665C: BF800001
	v_permlane16_swap_b32_e32 v16, v18                         // 000000006660: 7E20B312
	s_nop 1                                                    // 000000006664: BF800001
	v_permlane16_swap_b32_e32 v17, v19                         // 000000006668: 7E22B313
	s_nop 1                                                    // 00000000666C: BF800001
	buffer_store_dwordx4 v[16:19], v207, s[4:7], 0 offen       // 000000006670: E07C1000 800110CF
	v_add_u32_e32 v207, s62, v207                              // 000000006678: 699F9E3E
	v_accvgpr_read_b32 v8, a68                                 // 00000000667C: D3D84008 18000144
	v_accvgpr_read_b32 v9, a69                                 // 000000006684: D3D84009 18000145
	v_accvgpr_read_b32 v10, a70                                // 00000000668C: D3D8400A 18000146
	v_accvgpr_read_b32 v11, a71                                // 000000006694: D3D8400B 18000147
	v_accvgpr_read_b32 v12, a76                                // 00000000669C: D3D8400C 1800014C
	v_accvgpr_read_b32 v13, a77                                // 0000000066A4: D3D8400D 1800014D
	v_accvgpr_read_b32 v14, a78                                // 0000000066AC: D3D8400E 1800014E
	v_accvgpr_read_b32 v15, a79                                // 0000000066B4: D3D8400F 1800014F
	v_cvt_pk_bf16_f32 v16, v8, v9                              // 0000000066BC: D2680010 00021308
	v_cvt_pk_bf16_f32 v17, v10, v11                            // 0000000066C4: D2680011 0002170A
	v_cvt_pk_bf16_f32 v18, v12, v13                            // 0000000066CC: D2680012 00021B0C
	v_cvt_pk_bf16_f32 v19, v14, v15                            // 0000000066D4: D2680013 00021F0E
	s_nop 1                                                    // 0000000066DC: BF800001
	v_permlane16_swap_b32_e32 v16, v18                         // 0000000066E0: 7E20B312
	s_nop 1                                                    // 0000000066E4: BF800001
	v_permlane16_swap_b32_e32 v17, v19                         // 0000000066E8: 7E22B313
	s_nop 1                                                    // 0000000066EC: BF800001
	buffer_store_dwordx4 v[16:19], v207, s[4:7], 0 offen       // 0000000066F0: E07C1000 800110CF
	v_add_u32_e32 v207, s62, v207                              // 0000000066F8: 699F9E3E
	s_cmp_lt_i32 s60, s44                                      // 0000000066FC: BF042C3C
	s_cbranch_scc0 label_0F04                                  // 000000006700: BF840043
	s_addk_i32 s60, 0x20                                       // 000000006704: B73C0020
	v_add_u32_e32 v207, 0x140, v203                            // 000000006708: 699F96FF 00000140
	v_accvgpr_read_b32 v8, a80                                 // 000000006710: D3D84008 18000150
	v_accvgpr_read_b32 v9, a81                                 // 000000006718: D3D84009 18000151
	v_accvgpr_read_b32 v10, a82                                // 000000006720: D3D8400A 18000152
	v_accvgpr_read_b32 v11, a83                                // 000000006728: D3D8400B 18000153
	v_accvgpr_read_b32 v12, a88                                // 000000006730: D3D8400C 18000158
	v_accvgpr_read_b32 v13, a89                                // 000000006738: D3D8400D 18000159
	v_accvgpr_read_b32 v14, a90                                // 000000006740: D3D8400E 1800015A
	v_accvgpr_read_b32 v15, a91                                // 000000006748: D3D8400F 1800015B
	v_cvt_pk_bf16_f32 v16, v8, v9                              // 000000006750: D2680010 00021308
	v_cvt_pk_bf16_f32 v17, v10, v11                            // 000000006758: D2680011 0002170A
	v_cvt_pk_bf16_f32 v18, v12, v13                            // 000000006760: D2680012 00021B0C
	v_cvt_pk_bf16_f32 v19, v14, v15                            // 000000006768: D2680013 00021F0E
	s_nop 1                                                    // 000000006770: BF800001
	v_permlane16_swap_b32_e32 v16, v18                         // 000000006774: 7E20B312
	s_nop 1                                                    // 000000006778: BF800001
	v_permlane16_swap_b32_e32 v17, v19                         // 00000000677C: 7E22B313
	s_nop 1                                                    // 000000006780: BF800001
	buffer_store_dwordx4 v[16:19], v207, s[4:7], 0 offen       // 000000006784: E07C1000 800110CF
	v_add_u32_e32 v207, s62, v207                              // 00000000678C: 699F9E3E
	v_accvgpr_read_b32 v8, a84                                 // 000000006790: D3D84008 18000154
	v_accvgpr_read_b32 v9, a85                                 // 000000006798: D3D84009 18000155
	v_accvgpr_read_b32 v10, a86                                // 0000000067A0: D3D8400A 18000156
	v_accvgpr_read_b32 v11, a87                                // 0000000067A8: D3D8400B 18000157
	v_accvgpr_read_b32 v12, a92                                // 0000000067B0: D3D8400C 1800015C
	v_accvgpr_read_b32 v13, a93                                // 0000000067B8: D3D8400D 1800015D
	v_accvgpr_read_b32 v14, a94                                // 0000000067C0: D3D8400E 1800015E
	v_accvgpr_read_b32 v15, a95                                // 0000000067C8: D3D8400F 1800015F
	v_cvt_pk_bf16_f32 v16, v8, v9                              // 0000000067D0: D2680010 00021308
	v_cvt_pk_bf16_f32 v17, v10, v11                            // 0000000067D8: D2680011 0002170A
	v_cvt_pk_bf16_f32 v18, v12, v13                            // 0000000067E0: D2680012 00021B0C
	v_cvt_pk_bf16_f32 v19, v14, v15                            // 0000000067E8: D2680013 00021F0E
	s_nop 1                                                    // 0000000067F0: BF800001
	v_permlane16_swap_b32_e32 v16, v18                         // 0000000067F4: 7E20B312
	s_nop 1                                                    // 0000000067F8: BF800001
	v_permlane16_swap_b32_e32 v17, v19                         // 0000000067FC: 7E22B313
	s_nop 1                                                    // 000000006800: BF800001
	buffer_store_dwordx4 v[16:19], v207, s[4:7], 0 offen       // 000000006804: E07C1000 800110CF
	v_add_u32_e32 v207, s62, v207                              // 00000000680C: 699F9E3E

0000000000006810 <label_0F04>:
	s_waitcnt vmcnt(0) expcnt(0) lgkmcnt(0)                    // 000000006810: BF8C0000
	s_endpgm                                                   // 000000006814: BF810000
